;; amdgpu-corpus repo=ROCm/rocFFT kind=compiled arch=gfx1201 opt=O3
	.text
	.amdgcn_target "amdgcn-amd-amdhsa--gfx1201"
	.amdhsa_code_object_version 6
	.protected	bluestein_single_fwd_len1872_dim1_half_op_CI_CI ; -- Begin function bluestein_single_fwd_len1872_dim1_half_op_CI_CI
	.globl	bluestein_single_fwd_len1872_dim1_half_op_CI_CI
	.p2align	8
	.type	bluestein_single_fwd_len1872_dim1_half_op_CI_CI,@function
bluestein_single_fwd_len1872_dim1_half_op_CI_CI: ; @bluestein_single_fwd_len1872_dim1_half_op_CI_CI
; %bb.0:
	s_load_b128 s[8:11], s[0:1], 0x28
	v_mul_u32_u24_e32 v1, 0x1a5, v0
	s_mov_b32 s2, exec_lo
	v_mov_b32_e32 v14, 0
	s_delay_alu instid0(VALU_DEP_2) | instskip(NEXT) | instid1(VALU_DEP_1)
	v_lshrrev_b32_e32 v1, 16, v1
	v_add_nc_u32_e32 v13, ttmp9, v1
	s_wait_kmcnt 0x0
	s_delay_alu instid0(VALU_DEP_1)
	v_cmpx_gt_u64_e64 s[8:9], v[13:14]
	s_cbranch_execz .LBB0_15
; %bb.1:
	s_clause 0x1
	s_load_b64 s[20:21], s[0:1], 0x0
	s_load_b64 s[8:9], s[0:1], 0x38
	v_mul_lo_u16 v1, 0x9c, v1
	s_delay_alu instid0(VALU_DEP_1) | instskip(NEXT) | instid1(VALU_DEP_1)
	v_sub_nc_u16 v0, v0, v1
	v_and_b32_e32 v35, 0xffff, v0
	v_cmp_gt_u16_e32 vcc_lo, 0x90, v0
	s_delay_alu instid0(VALU_DEP_2)
	v_lshlrev_b32_e32 v34, 2, v35
	s_and_saveexec_b32 s3, vcc_lo
	s_cbranch_execz .LBB0_3
; %bb.2:
	s_load_b64 s[4:5], s[0:1], 0x18
	s_delay_alu instid0(VALU_DEP_1)
	v_add_nc_u32_e32 v29, 0xc00, v34
	s_wait_kmcnt 0x0
	s_load_b128 s[4:7], s[4:5], 0x0
	s_wait_kmcnt 0x0
	v_mad_co_u64_u32 v[0:1], null, s6, v13, 0
	v_mad_co_u64_u32 v[2:3], null, s4, v35, 0
	s_delay_alu instid0(VALU_DEP_1) | instskip(NEXT) | instid1(VALU_DEP_1)
	v_mad_co_u64_u32 v[4:5], null, s7, v13, v[1:2]
	v_mad_co_u64_u32 v[5:6], null, s5, v35, v[3:4]
	v_mov_b32_e32 v1, v4
	s_mul_u64 s[4:5], s[4:5], 0x240
	s_delay_alu instid0(VALU_DEP_1) | instskip(NEXT) | instid1(VALU_DEP_3)
	v_lshlrev_b64_e32 v[0:1], 2, v[0:1]
	v_mov_b32_e32 v3, v5
	s_clause 0x7
	global_load_b32 v4, v34, s[20:21]
	global_load_b32 v5, v34, s[20:21] offset:576
	global_load_b32 v6, v34, s[20:21] offset:1152
	;; [unrolled: 1-line block ×7, first 2 shown]
	v_add_co_u32 v0, s2, s10, v0
	v_lshlrev_b64_e32 v[2:3], 2, v[2:3]
	v_add_co_ci_u32_e64 v1, s2, s11, v1, s2
	s_delay_alu instid0(VALU_DEP_2) | instskip(SKIP_1) | instid1(VALU_DEP_2)
	v_add_co_u32 v0, s2, v0, v2
	s_wait_alu 0xf1ff
	v_add_co_ci_u32_e64 v1, s2, v1, v3, s2
	global_load_b32 v12, v[0:1], off
	s_wait_alu 0xfffe
	v_add_co_u32 v0, s2, v0, s4
	s_wait_alu 0xf1ff
	v_add_co_ci_u32_e64 v1, s2, s5, v1, s2
	s_clause 0x3
	global_load_b32 v14, v34, s[20:21] offset:4608
	global_load_b32 v15, v34, s[20:21] offset:5184
	;; [unrolled: 1-line block ×4, first 2 shown]
	global_load_b32 v18, v[0:1], off
	v_add_co_u32 v0, s2, v0, s4
	s_wait_alu 0xf1ff
	v_add_co_ci_u32_e64 v1, s2, s5, v1, s2
	global_load_b32 v19, v34, s[20:21] offset:6912
	v_add_co_u32 v2, s2, v0, s4
	s_wait_alu 0xf1ff
	v_add_co_ci_u32_e64 v3, s2, s5, v1, s2
	global_load_b32 v20, v[0:1], off
	v_add_co_u32 v0, s2, v2, s4
	s_wait_alu 0xf1ff
	v_add_co_ci_u32_e64 v1, s2, s5, v3, s2
	s_clause 0x1
	global_load_b32 v21, v[2:3], off
	global_load_b32 v22, v[0:1], off
	v_add_co_u32 v0, s2, v0, s4
	s_wait_alu 0xf1ff
	v_add_co_ci_u32_e64 v1, s2, s5, v1, s2
	s_delay_alu instid0(VALU_DEP_2) | instskip(SKIP_1) | instid1(VALU_DEP_2)
	v_add_co_u32 v2, s2, v0, s4
	s_wait_alu 0xf1ff
	v_add_co_ci_u32_e64 v3, s2, s5, v1, s2
	global_load_b32 v23, v[0:1], off
	v_add_co_u32 v0, s2, v2, s4
	s_wait_alu 0xf1ff
	v_add_co_ci_u32_e64 v1, s2, s5, v3, s2
	global_load_b32 v24, v[2:3], off
	global_load_b32 v25, v[0:1], off
	v_add_co_u32 v0, s2, v0, s4
	s_wait_alu 0xf1ff
	v_add_co_ci_u32_e64 v1, s2, s5, v1, s2
	s_delay_alu instid0(VALU_DEP_2) | instskip(SKIP_1) | instid1(VALU_DEP_2)
	v_add_co_u32 v2, s2, v0, s4
	s_wait_alu 0xf1ff
	v_add_co_ci_u32_e64 v3, s2, s5, v1, s2
	global_load_b32 v26, v[0:1], off
	v_add_co_u32 v0, s2, v2, s4
	s_wait_alu 0xf1ff
	v_add_co_ci_u32_e64 v1, s2, s5, v3, s2
	global_load_b32 v27, v[2:3], off
	;; [unrolled: 4-line block ×4, first 2 shown]
	global_load_b32 v0, v[0:1], off
	v_add_nc_u32_e32 v1, 0x400, v34
	v_add_nc_u32_e32 v3, 0x800, v34
	s_wait_loadcnt 0x19
	v_lshrrev_b32_e32 v30, 16, v4
	s_wait_loadcnt 0x18
	v_lshrrev_b32_e32 v31, 16, v5
	;; [unrolled: 2-line block ×9, first 2 shown]
	v_mul_f16_e32 v45, v30, v12
	s_wait_loadcnt 0x10
	v_lshrrev_b32_e32 v40, 16, v14
	s_wait_loadcnt 0xf
	v_lshrrev_b32_e32 v42, 16, v15
	;; [unrolled: 2-line block ×3, first 2 shown]
	v_mul_f16_e32 v30, v30, v41
	s_wait_loadcnt 0xc
	v_lshrrev_b32_e32 v46, 16, v18
	v_mul_f16_e32 v48, v31, v18
	v_fma_f16 v41, v4, v41, -v45
	v_lshrrev_b32_e32 v44, 16, v17
	v_fmac_f16_e32 v30, v4, v12
	v_mul_f16_e32 v4, v31, v46
	v_fma_f16 v31, v5, v46, -v48
	s_wait_loadcnt 0xb
	v_lshrrev_b32_e32 v47, 16, v19
	s_wait_loadcnt 0xa
	v_lshrrev_b32_e32 v12, 16, v20
	v_mul_f16_e32 v45, v32, v20
	v_fmac_f16_e32 v4, v5, v18
	v_pack_b32_f16 v30, v30, v41
	s_delay_alu instid0(VALU_DEP_4)
	v_mul_f16_e32 v5, v32, v12
	s_wait_loadcnt 0x9
	v_lshrrev_b32_e32 v18, 16, v21
	v_mul_f16_e32 v32, v33, v21
	v_fma_f16 v12, v6, v12, -v45
	v_pack_b32_f16 v4, v4, v31
	v_fmac_f16_e32 v5, v6, v20
	v_mul_f16_e32 v6, v33, v18
	s_wait_loadcnt 0x8
	v_lshrrev_b32_e32 v20, 16, v22
	v_fma_f16 v18, v7, v18, -v32
	v_mul_f16_e32 v31, v36, v22
	ds_store_2addr_b32 v34, v30, v4 offset1:144
	v_pack_b32_f16 v4, v5, v12
	v_fmac_f16_e32 v6, v7, v21
	v_mul_f16_e32 v5, v36, v20
	s_wait_loadcnt 0x7
	v_lshrrev_b32_e32 v7, 16, v23
	v_mul_f16_e32 v12, v37, v23
	v_fma_f16 v20, v8, v20, -v31
	v_pack_b32_f16 v6, v6, v18
	v_fmac_f16_e32 v5, v8, v22
	v_mul_f16_e32 v8, v37, v7
	v_fma_f16 v7, v9, v7, -v12
	s_wait_loadcnt 0x6
	v_lshrrev_b32_e32 v12, 16, v24
	ds_store_2addr_b32 v1, v4, v6 offset0:32 offset1:176
	v_pack_b32_f16 v1, v5, v20
	v_fmac_f16_e32 v8, v9, v23
	s_wait_loadcnt 0x5
	v_lshrrev_b32_e32 v5, 16, v25
	v_mul_f16_e32 v18, v38, v24
	v_mul_f16_e32 v4, v38, v12
	;; [unrolled: 1-line block ×3, first 2 shown]
	v_pack_b32_f16 v7, v8, v7
	v_mul_f16_e32 v8, v39, v5
	v_fma_f16 v6, v10, v12, -v18
	v_fmac_f16_e32 v4, v10, v24
	s_wait_loadcnt 0x4
	v_lshrrev_b32_e32 v10, 16, v26
	v_fma_f16 v5, v11, v5, -v9
	v_mul_f16_e32 v9, v40, v26
	v_fmac_f16_e32 v8, v11, v25
	s_wait_loadcnt 0x3
	v_lshrrev_b32_e32 v11, 16, v27
	v_pack_b32_f16 v4, v4, v6
	v_mul_f16_e32 v6, v40, v10
	v_fma_f16 v9, v14, v10, -v9
	v_mul_f16_e32 v10, v42, v27
	v_pack_b32_f16 v5, v8, v5
	v_mul_f16_e32 v8, v42, v11
	v_fmac_f16_e32 v6, v14, v26
	s_wait_loadcnt 0x2
	v_lshrrev_b32_e32 v12, 16, v28
	v_fma_f16 v10, v15, v11, -v10
	v_mul_f16_e32 v11, v43, v28
	v_fmac_f16_e32 v8, v15, v27
	s_wait_loadcnt 0x1
	v_lshrrev_b32_e32 v14, 16, v2
	s_wait_loadcnt 0x0
	v_lshrrev_b32_e32 v15, 16, v0
	v_pack_b32_f16 v6, v6, v9
	v_mul_f16_e32 v9, v43, v12
	v_fma_f16 v11, v16, v12, -v11
	v_mul_f16_e32 v12, v44, v2
	v_pack_b32_f16 v8, v8, v10
	v_mul_f16_e32 v10, v44, v14
	v_mul_f16_e32 v18, v47, v15
	v_mul_f16_e32 v20, v47, v0
	v_fmac_f16_e32 v9, v16, v28
	v_fma_f16 v12, v17, v14, -v12
	v_fmac_f16_e32 v10, v17, v2
	v_add_nc_u32_e32 v2, 0x1200, v34
	v_fmac_f16_e32 v18, v19, v0
	v_fma_f16 v0, v19, v15, -v20
	v_pack_b32_f16 v9, v9, v11
	v_pack_b32_f16 v10, v10, v12
	v_add_nc_u32_e32 v11, 0x1600, v34
	s_delay_alu instid0(VALU_DEP_4)
	v_pack_b32_f16 v0, v18, v0
	ds_store_2addr_b32 v3, v1, v7 offset0:64 offset1:208
	ds_store_2addr_b32 v29, v4, v5 offset0:96 offset1:240
	ds_store_2addr_b32 v2, v6, v8 offset1:144
	ds_store_2addr_b32 v11, v9, v10 offset0:32 offset1:176
	ds_store_b32 v34, v0 offset:6912
.LBB0_3:
	s_or_b32 exec_lo, exec_lo, s3
	s_clause 0x1
	s_load_b64 s[2:3], s[0:1], 0x20
	s_load_b64 s[0:1], s[0:1], 0x8
	v_mov_b32_e32 v2, 0
	global_wb scope:SCOPE_SE
	s_wait_dscnt 0x0
	s_wait_kmcnt 0x0
	s_barrier_signal -1
	s_barrier_wait -1
	global_inv scope:SCOPE_SE
                                        ; implicit-def: $vgpr12
                                        ; implicit-def: $vgpr1
                                        ; implicit-def: $vgpr5
                                        ; implicit-def: $vgpr7
                                        ; implicit-def: $vgpr9
                                        ; implicit-def: $vgpr11
                                        ; kill: def $vgpr0 killed $sgpr0 killed $exec
	s_and_saveexec_b32 s4, vcc_lo
	s_cbranch_execz .LBB0_5
; %bb.4:
	v_add_nc_u32_e32 v0, 0x400, v34
	v_add_nc_u32_e32 v1, 0x800, v34
	v_add_nc_u32_e32 v4, 0xc00, v34
	v_add_nc_u32_e32 v5, 0x1200, v34
	v_add_nc_u32_e32 v12, 0x1600, v34
	ds_load_2addr_b32 v[2:3], v34 offset1:144
	ds_load_2addr_b32 v[10:11], v0 offset0:32 offset1:176
	ds_load_2addr_b32 v[8:9], v1 offset0:64 offset1:208
	;; [unrolled: 1-line block ×3, first 2 shown]
	ds_load_2addr_b32 v[4:5], v5 offset1:144
	ds_load_2addr_b32 v[0:1], v12 offset0:32 offset1:176
	ds_load_b32 v12, v34 offset:6912
.LBB0_5:
	s_wait_alu 0xfffe
	s_or_b32 exec_lo, exec_lo, s4
	s_wait_dscnt 0x0
	v_pk_add_f16 v14, v3, v12 neg_lo:[0,1] neg_hi:[0,1]
	v_pk_add_f16 v19, v12, v3
	v_pk_add_f16 v15, v10, v1 neg_lo:[0,1] neg_hi:[0,1]
	v_lshrrev_b32_e32 v26, 16, v2
	v_pk_add_f16 v20, v1, v10
	v_lshrrev_b32_e32 v49, 16, v14
	v_lshrrev_b32_e32 v55, 16, v19
	v_mul_f16_e32 v31, 0xb770, v14
	v_lshrrev_b32_e32 v50, 16, v15
	v_pk_add_f16 v16, v11, v0 neg_lo:[0,1] neg_hi:[0,1]
	v_mul_f16_e32 v28, 0xb770, v49
	v_pk_add_f16 v21, v0, v11
	v_fma_f16 v17, v55, 0x3b15, -v31
	v_lshrrev_b32_e32 v46, 16, v20
	v_mul_f16_e32 v27, 0xba95, v50
	v_fmamk_f16 v18, v19, 0x3b15, v28
	v_mul_f16_e32 v29, 0xba95, v15
	v_lshrrev_b32_e32 v51, 16, v16
	v_add_f16_e32 v22, v17, v26
	v_pk_add_f16 v17, v8, v5 neg_lo:[0,1] neg_hi:[0,1]
	v_fmamk_f16 v23, v20, 0x388b, v27
	v_add_f16_e32 v18, v18, v2
	v_fma_f16 v24, v46, 0x388b, -v29
	v_mul_f16_e32 v30, 0xbbf1, v51
	v_lshrrev_b32_e32 v47, 16, v21
	v_mul_f16_e32 v33, 0xbbf1, v16
	v_lshrrev_b32_e32 v52, 16, v17
	v_add_f16_e32 v18, v23, v18
	v_add_f16_e32 v22, v24, v22
	v_fmamk_f16 v24, v21, 0x2fb7, v30
	v_fma_f16 v25, v47, 0x2fb7, -v33
	v_pk_add_f16 v23, v5, v8
	v_mul_f16_e32 v32, 0xbb7b, v52
	v_mul_f16_e32 v41, 0xbb7b, v17
	v_add_f16_e32 v36, v24, v18
	v_pk_add_f16 v18, v9, v4 neg_lo:[0,1] neg_hi:[0,1]
	v_add_f16_e32 v37, v25, v22
	v_fmamk_f16 v22, v23, 0xb5ac, v32
	v_lshrrev_b32_e32 v48, 16, v23
	v_pk_add_f16 v24, v4, v9
	v_lshrrev_b32_e32 v53, 16, v18
	v_mul_f16_e32 v43, 0xb94e, v18
	v_add_f16_e32 v38, v22, v36
	v_pk_add_f16 v22, v6, v7 neg_lo:[0,1] neg_hi:[0,1]
	v_fma_f16 v39, v48, 0xb5ac, -v41
	v_mul_f16_e32 v36, 0xb94e, v53
	v_lshrrev_b32_e32 v45, 16, v24
	v_pk_add_f16 v25, v7, v6
	v_lshrrev_b32_e32 v54, 16, v22
	v_add_f16_e32 v39, v39, v37
	v_fmamk_f16 v40, v24, 0xb9fd, v36
	v_fma_f16 v56, v45, 0xb9fd, -v43
	v_lshrrev_b32_e32 v44, 16, v25
	v_mul_f16_e32 v37, 0xb3a8, v54
	v_mul_f16_e32 v42, 0xb3a8, v22
	v_add_f16_e32 v38, v40, v38
	v_add_f16_e32 v40, v56, v39
	global_wb scope:SCOPE_SE
	v_fmamk_f16 v39, v25, 0xbbc4, v37
	v_fma_f16 v56, v44, 0xbbc4, -v42
	s_barrier_signal -1
	s_barrier_wait -1
	global_inv scope:SCOPE_SE
	v_add_f16_e32 v39, v39, v38
	v_add_f16_e32 v40, v56, v40
	v_mul_lo_u16 v38, v35, 13
	s_and_saveexec_b32 s4, vcc_lo
	s_cbranch_execz .LBB0_7
; %bb.6:
	v_mul_f16_e32 v56, 0xba95, v49
	v_mul_f16_e32 v59, 0x2fb7, v55
	;; [unrolled: 1-line block ×5, first 2 shown]
	v_fmamk_f16 v61, v19, 0x388b, v56
	v_fmamk_f16 v64, v14, 0x3bf1, v59
	;; [unrolled: 1-line block ×4, first 2 shown]
	v_mul_f16_e32 v68, 0xb5ac, v47
	v_add_f16_e32 v61, v61, v2
	v_add_f16_e32 v64, v64, v26
	v_mul_f16_e32 v69, 0x394e, v52
	v_mul_f16_e32 v70, 0x3b15, v48
	;; [unrolled: 1-line block ×3, first 2 shown]
	v_add_f16_e32 v61, v65, v61
	v_fmamk_f16 v65, v21, 0xbbc4, v66
	v_add_f16_e32 v64, v67, v64
	v_fmamk_f16 v67, v16, 0xbb7b, v68
	v_mul_f16_e32 v72, 0x388b, v45
	v_mul_f16_e32 v73, 0x3770, v54
	v_add_f16_e32 v61, v65, v61
	v_fmamk_f16 v65, v23, 0xb9fd, v69
	v_add_f16_e32 v64, v67, v64
	v_fmamk_f16 v67, v17, 0xb770, v70
	v_mul_f16_e32 v74, 0xb9fd, v44
	v_mul_f16_e32 v75, 0xb5ac, v55
	;; [unrolled: 6-line block ×3, first 2 shown]
	v_add_f16_e32 v61, v65, v61
	v_fmamk_f16 v65, v25, 0x3b15, v73
	v_add_f16_e32 v64, v67, v64
	v_fmamk_f16 v67, v22, 0x394e, v74
	v_mul_f16_e32 v78, 0x394e, v50
	v_fmamk_f16 v79, v15, 0xb94e, v77
	v_add_f16_e32 v61, v65, v61
	v_fmamk_f16 v65, v14, 0x3b7b, v75
	v_add_f16_e32 v64, v67, v64
	v_fmamk_f16 v67, v19, 0xb5ac, v76
	v_mul_f16_e32 v80, 0x3b15, v47
	v_fmamk_f16 v81, v20, 0xb9fd, v78
	v_add_f16_e32 v65, v65, v26
	v_mul_f16_e32 v82, 0x3770, v51
	v_add_f16_e32 v67, v67, v2
	v_mul_f16_e32 v83, 0x2fb7, v48
	v_mul_f16_e32 v84, 0xbbf1, v52
	v_add_f16_e32 v65, v79, v65
	v_fmamk_f16 v79, v16, 0xb770, v80
	v_add_f16_e32 v67, v81, v67
	v_fmamk_f16 v81, v21, 0x3b15, v82
	v_mul_f16_e32 v62, 0x3b15, v55
	v_mul_f16_e32 v55, 0xb9fd, v55
	v_add_f16_e32 v65, v79, v65
	v_fmamk_f16 v79, v17, 0x3bf1, v83
	v_add_f16_e32 v67, v81, v67
	v_fmamk_f16 v81, v23, 0x2fb7, v84
	v_mul_f16_e32 v85, 0x33a8, v53
	v_mul_f16_e32 v86, 0x2fb7, v46
	v_add_f16_e32 v65, v79, v65
	v_fmamk_f16 v79, v14, 0x394e, v55
	v_add_f16_e32 v67, v81, v67
	v_fmamk_f16 v81, v24, 0xbbc4, v85
	v_mul_f16_e32 v87, 0x3a95, v54
	v_alignbit_b32 v57, v2, v2, 16
	v_add_f16_e32 v79, v79, v26
	v_fmamk_f16 v88, v15, 0xbbf1, v86
	v_mul_f16_e32 v89, 0x388b, v47
	v_add_f16_e32 v67, v81, v67
	v_fmamk_f16 v81, v25, 0x388b, v87
	v_mul_f16_e32 v49, 0xb94e, v49
	;; [unrolled: 3-line block ×4, first 2 shown]
	v_pk_add_f16 v3, v3, v57 op_sel:[0,1] op_sel_hi:[1,0]
	v_add_f16_e32 v79, v88, v79
	v_fmamk_f16 v88, v17, 0xb3a8, v90
	v_mul_f16_e32 v91, 0x3b15, v45
	v_add_f16_e32 v81, v81, v2
	v_fmamk_f16 v92, v20, 0x2fb7, v50
	v_mul_f16_e32 v51, 0xba95, v51
	v_fmac_f16_e32 v55, 0xb94e, v14
	v_pk_add_f16 v3, v10, v3
	v_mul_f16_e32 v58, 0x3b15, v19
	v_add_f16_e32 v79, v88, v79
	v_fmamk_f16 v88, v18, 0xb770, v91
	v_mul_f16_e32 v93, 0xb5ac, v44
	v_add_f16_e32 v81, v92, v81
	v_fmamk_f16 v92, v21, 0x388b, v51
	v_mul_f16_e32 v52, 0x33a8, v52
	v_mul_f16_e32 v46, 0x388b, v46
	v_add_f16_e32 v55, v55, v26
	v_fmac_f16_e32 v86, 0x3bf1, v15
	v_fma_f16 v49, v19, 0xb9fd, -v49
	v_fmac_f16_e32 v75, 0xbb7b, v14
	v_fmac_f16_e32 v59, 0xbbf1, v14
	v_fma_f16 v56, v19, 0x388b, -v56
	v_add_f16_e32 v31, v31, v62
	v_pk_add_f16 v3, v11, v3
	v_mul_f16_e32 v94, 0x388b, v20
	v_add_f16_e32 v79, v88, v79
	v_fmamk_f16 v88, v22, 0x3b7b, v93
	v_add_f16_e32 v81, v92, v81
	v_fmamk_f16 v92, v23, 0xbbc4, v52
	v_mul_f16_e32 v53, 0x3770, v53
	v_add_f16_e32 v55, v86, v55
	v_fmac_f16_e32 v89, 0xba95, v16
	v_add_f16_e32 v49, v49, v2
	v_fma_f16 v50, v20, 0x2fb7, -v50
	v_add_f16_e32 v75, v75, v26
	v_fma_f16 v76, v19, 0xb5ac, -v76
	v_add_f16_e32 v59, v59, v26
	v_add_f16_e32 v56, v56, v2
	v_fma_f16 v60, v20, 0xb5ac, -v60
	v_add_f16_e32 v26, v31, v26
	v_add_f16_e32 v11, v29, v46
	v_sub_f16_e32 v28, v58, v28
	v_pk_add_f16 v3, v8, v3
	v_add_f16_e32 v79, v88, v79
	v_add_f16_e32 v81, v92, v81
	v_fmamk_f16 v88, v24, 0x3b15, v53
	v_mul_f16_e32 v54, 0xbb7b, v54
	v_mul_f16_e32 v92, 0x2fb7, v21
	v_add_f16_e32 v55, v89, v55
	v_fmac_f16_e32 v90, 0x33a8, v17
	v_add_f16_e32 v49, v50, v49
	v_fma_f16 v50, v21, 0x388b, -v51
	v_add_f16_e32 v76, v76, v2
	v_add_f16_e32 v56, v60, v56
	v_fma_f16 v60, v21, 0xbbc4, -v66
	v_add_f16_e32 v8, v11, v26
	v_add_f16_e32 v2, v28, v2
	v_sub_f16_e32 v26, v94, v27
	v_pk_add_f16 v3, v9, v3
	v_fmac_f16_e32 v77, 0x394e, v15
	v_mul_f16_e32 v47, 0x2fb7, v47
	v_add_f16_e32 v81, v88, v81
	v_fmamk_f16 v88, v25, 0xb5ac, v54
	v_mul_f16_e32 v86, 0xb5ac, v23
	v_add_f16_e32 v55, v90, v55
	v_fmac_f16_e32 v91, 0x3770, v18
	v_pk_mul_f16 v90, 0x388b2fb7, v19
	v_add_f16_e32 v49, v50, v49
	v_fma_f16 v52, v23, 0xbbc4, -v52
	v_add_f16_e32 v10, v60, v56
	v_fma_f16 v56, v23, 0xb9fd, -v69
	v_add_f16_e32 v2, v26, v2
	v_pk_add_f16 v3, v6, v3
	v_sub_f16_e32 v6, v92, v30
	v_add_f16_e32 v75, v77, v75
	v_fmac_f16_e32 v80, 0x3770, v16
	v_fma_f16 v78, v20, 0xb9fd, -v78
	v_mul_f16_e32 v48, 0xb5ac, v48
	v_add_f16_e32 v81, v88, v81
	v_mul_f16_e32 v88, 0xb9fd, v24
	v_add_f16_e32 v55, v91, v55
	v_pk_fma_f16 v91, 0xbbf1ba95, v14, v90 op_sel:[0,0,1] op_sel_hi:[1,1,0] neg_lo:[0,1,0] neg_hi:[0,1,0]
	v_fmac_f16_e32 v93, 0xbb7b, v22
	v_add_f16_e32 v49, v52, v49
	v_pk_mul_f16 v52, 0xb5acbbc4, v20
	v_fma_f16 v53, v24, 0x3b15, -v53
	v_pk_fma_f16 v90, 0xbbf1ba95, v14, v90 op_sel:[0,0,1] op_sel_hi:[1,1,0]
	v_add_f16_e32 v10, v56, v10
	v_fma_f16 v29, v24, 0x2fb7, -v71
	v_add_f16_e32 v11, v33, v47
	v_pk_add_f16 v3, v7, v3
	v_add_f16_e32 v2, v6, v2
	v_sub_f16_e32 v6, v86, v32
	v_mul_f16_e32 v89, 0xb9fd, v45
	v_add_f16_e32 v75, v80, v75
	v_fmac_f16_e32 v83, 0xbbf1, v17
	v_mul_f16_e32 v45, 0xbbc4, v45
	v_add_f16_e32 v76, v78, v76
	v_fma_f16 v78, v21, 0x3b15, -v82
	v_mul_f16_e32 v51, 0xbbc4, v25
	v_add_f16_e32 v55, v93, v55
	v_pk_fma_f16 v93, 0xb3a8bb7b, v15, v52 op_sel:[0,0,1] op_sel_hi:[1,1,0] neg_lo:[0,1,0] neg_hi:[0,1,0]
	v_add_f16_e32 v49, v53, v49
	v_pk_mul_f16 v53, 0xbbc4b5ac, v21
	v_fma_f16 v54, v25, 0xb5ac, -v54
	v_pk_fma_f16 v52, 0xb3a8bb7b, v15, v52 op_sel:[0,0,1] op_sel_hi:[1,1,0]
	v_add_f16_e32 v9, v29, v10
	v_add_f16_e32 v8, v11, v8
	;; [unrolled: 1-line block ×3, first 2 shown]
	v_pk_add_f16 v3, v4, v3
	v_bfi_b32 v4, 0xffff, v90, v91
	v_add_f16_e32 v2, v6, v2
	v_sub_f16_e32 v6, v88, v36
	v_mul_f16_e32 v50, 0xbbc4, v44
	v_add_f16_e32 v75, v83, v75
	v_fmamk_f16 v83, v18, 0xb3a8, v45
	v_fmac_f16_e32 v45, 0x33a8, v18
	v_add_f16_e32 v76, v78, v76
	v_fma_f16 v84, v23, 0x2fb7, -v84
	v_mul_f16_e32 v44, 0x388b, v44
	v_pk_mul_f16 v77, 0xb9fd3b15, v23
	v_add_f16_e32 v49, v54, v49
	v_pk_fma_f16 v54, 0x3b7bb3a8, v16, v53 op_sel:[0,0,1] op_sel_hi:[1,1,0] neg_lo:[0,1,0] neg_hi:[0,1,0]
	v_pk_fma_f16 v53, 0x3b7bb3a8, v16, v53 op_sel:[0,0,1] op_sel_hi:[1,1,0]
	v_fma_f16 v11, v25, 0x3b15, -v73
	v_add_f16_e32 v8, v10, v8
	v_add_f16_e32 v10, v43, v89
	v_pk_add_f16 v3, v5, v3
	v_pk_add_f16 v4, v4, v57
	v_bfi_b32 v5, 0xffff, v52, v93
	v_add_f16_e32 v2, v6, v2
	v_sub_f16_e32 v6, v51, v37
	v_add_f16_e32 v45, v45, v75
	v_add_f16_e32 v76, v84, v76
	v_fmamk_f16 v84, v22, 0x3a95, v44
	v_pk_fma_f16 v80, 0x3770394e, v17, v77 op_sel:[0,0,1] op_sel_hi:[1,1,0] neg_lo:[0,1,0] neg_hi:[0,1,0]
	v_pk_mul_f16 v78, 0x2fb7388b, v24
	v_pk_fma_f16 v77, 0x3770394e, v17, v77 op_sel:[0,0,1] op_sel_hi:[1,1,0]
	v_add_f16_e32 v7, v11, v9
	v_add_f16_e32 v8, v10, v8
	;; [unrolled: 1-line block ×3, first 2 shown]
	v_pk_add_f16 v0, v0, v3
	v_pk_add_f16 v3, v5, v4
	v_bfi_b32 v4, 0xffff, v53, v54
	v_add_f16_e32 v2, v6, v2
	v_and_b32_e32 v5, 0xffff, v38
	v_pk_mul_f16 v6, 0xbbc4, v19 op_sel_hi:[0,1]
	v_add_f16_e32 v45, v84, v45
	v_pk_add_f16 v84, v90, v57
	v_fmac_f16_e32 v63, 0xb3a8, v15
	v_pk_fma_f16 v75, 0xba953bf1, v18, v78 op_sel:[0,0,1] op_sel_hi:[1,1,0] neg_lo:[0,1,0] neg_hi:[0,1,0]
	v_pk_fma_f16 v78, 0xba953bf1, v18, v78 op_sel:[0,0,1] op_sel_hi:[1,1,0]
	v_add_f16_e32 v8, v9, v8
	v_pk_add_f16 v0, v1, v0
	v_pk_add_f16 v1, v4, v3
	v_bfi_b32 v3, 0xffff, v77, v80
	v_lshlrev_b32_e32 v4, 2, v5
	v_pk_fma_f16 v5, 0xb3a8, v14, v6 op_sel:[0,0,1] op_sel_hi:[0,1,0] neg_lo:[0,1,0] neg_hi:[0,1,0]
	v_pk_mul_f16 v9, 0x3b15, v20 op_sel_hi:[0,1]
	v_pk_fma_f16 v6, 0xb3a8, v14, v6 op_sel:[0,0,1] op_sel_hi:[0,1,0]
	v_fma_f16 v85, v24, 0xbbc4, -v85
	v_pk_add_f16 v84, v52, v84
	v_add_f16_e32 v59, v63, v59
	v_fmac_f16_e32 v68, 0x3b7b, v16
	v_pk_add_f16 v1, v3, v1
	v_bfi_b32 v3, 0xffff, v78, v75
	v_pk_add_f16 v5, v5, v57
	v_pk_fma_f16 v10, 0x3770, v15, v9 op_sel:[0,0,1] op_sel_hi:[0,1,0] neg_lo:[0,1,0] neg_hi:[0,1,0]
	v_pk_mul_f16 v11, 0xb9fd, v21 op_sel_hi:[0,1]
	v_pk_add_f16 v6, v6, v57
	v_pk_fma_f16 v9, 0x3770, v15, v9 op_sel:[0,0,1] op_sel_hi:[0,1,0]
	v_add_f16_e32 v82, v91, v57
	v_add_f16_e32 v76, v85, v76
	v_pk_mul_f16 v85, 0x3b15b9fd, v25
	v_pk_add_f16 v84, v53, v84
	v_add_f16_e32 v59, v68, v59
	v_fmac_f16_e32 v70, 0x3770, v17
	v_pack_b32_f16 v2, v2, v8
	v_pk_add_f16 v1, v3, v1
	v_pk_add_f16 v3, v10, v5
	v_pk_fma_f16 v5, 0xb94e, v16, v11 op_sel:[0,0,1] op_sel_hi:[0,1,0] neg_lo:[0,1,0] neg_hi:[0,1,0]
	v_pk_mul_f16 v8, 0x388b, v23 op_sel_hi:[0,1]
	v_pk_add_f16 v6, v9, v6
	v_pk_fma_f16 v9, 0xb94e, v16, v11 op_sel:[0,0,1] op_sel_hi:[0,1,0]
	v_add_f16_e32 v82, v93, v82
	v_pk_fma_f16 v63, 0xb94e3770, v22, v85 op_sel:[0,0,1] op_sel_hi:[1,1,0] neg_lo:[0,1,0] neg_hi:[0,1,0]
	v_pk_add_f16 v84, v77, v84
	v_add_f16_e32 v59, v70, v59
	v_mul_f16_e32 v70, 0x3a95, v22
	v_pk_fma_f16 v10, 0xb94e3770, v22, v85 op_sel:[0,0,1] op_sel_hi:[1,1,0]
	v_pk_add_f16 v0, v12, v0
	v_pk_add_f16 v3, v5, v3
	v_pk_fma_f16 v5, 0x3a95, v17, v8 op_sel:[0,0,1] op_sel_hi:[0,1,0] neg_lo:[0,1,0] neg_hi:[0,1,0]
	v_pk_mul_f16 v12, 0xb5ac, v24 op_sel_hi:[0,1]
	v_pk_add_f16 v6, v9, v6
	v_pk_fma_f16 v8, 0x3a95, v17, v8 op_sel:[0,0,1] op_sel_hi:[0,1,0]
	v_add_f16_e32 v82, v54, v82
	v_pk_mul_f16 v68, 0xb94e3770, v22
	v_fmac_f16_e32 v72, 0xba95, v18
	v_bfi_b32 v10, 0xffff, v10, v63
	v_bfi_b32 v9, 0xffff, v70, v84
	v_pk_add_f16 v3, v5, v3
	v_pk_fma_f16 v5, 0xbb7b, v18, v12 op_sel:[0,0,1] op_sel_hi:[0,1,0] neg_lo:[0,1,0] neg_hi:[0,1,0]
	v_pk_mul_f16 v11, 0x2fb7, v25 op_sel_hi:[0,1]
	v_pk_add_f16 v6, v8, v6
	v_pk_fma_f16 v8, 0xbb7b, v18, v12 op_sel:[0,0,1] op_sel_hi:[0,1,0]
	v_add_f16_e32 v82, v80, v82
	v_add_f16_e32 v59, v72, v59
	v_fmac_f16_e32 v74, 0xb94e, v22
	v_pk_add_f16 v1, v10, v1
	v_pack_b32_f16 v10, v83, v85
	v_bfi_b32 v12, 0xffff, v65, v68
	v_pk_add_f16 v9, v44, v9 neg_lo:[0,1] neg_hi:[0,1]
	v_pk_add_f16 v14, v78, v84
	v_fma_f16 v87, v25, 0x388b, -v87
	v_pk_add_f16 v3, v5, v3
	v_pk_fma_f16 v5, 0x3bf1, v22, v11 op_sel:[0,0,1] op_sel_hi:[0,1,0] neg_lo:[0,1,0] neg_hi:[0,1,0]
	v_pk_add_f16 v6, v8, v6
	v_pk_fma_f16 v8, 0x3bf1, v22, v11 op_sel:[0,0,1] op_sel_hi:[0,1,0]
	v_add_f16_e32 v82, v75, v82
	v_add_f16_e32 v59, v74, v59
	v_pk_add_f16 v10, v10, v12
	v_bfi_b32 v9, 0xffff, v9, v14
	v_add_f16_e32 v76, v87, v76
	v_pk_add_f16 v3, v5, v3
	v_pk_add_f16 v5, v8, v6
	v_add_f16_e32 v82, v63, v82
	v_alignbit_b32 v11, v59, v1, 16
	v_pack_b32_f16 v1, v7, v1
	v_pk_add_f16 v7, v9, v10
	v_pack_b32_f16 v6, v49, v55
	v_pack_b32_f16 v8, v76, v45
	v_alignbit_b32 v9, v3, v5, 16
	v_alignbit_b32 v3, v5, v3, 16
	v_pack_b32_f16 v5, v81, v79
	v_alignbit_b32 v10, v64, v7, 16
	v_pack_b32_f16 v7, v67, v7
	v_pack_b32_f16 v12, v61, v82
	v_perm_b32 v14, v40, v39, 0x5040100
	ds_store_2addr_b32 v4, v0, v2 offset1:1
	ds_store_2addr_b32 v4, v1, v11 offset0:2 offset1:3
	ds_store_2addr_b32 v4, v8, v6 offset0:4 offset1:5
	;; [unrolled: 1-line block ×3, first 2 shown]
	ds_store_b32 v4, v5 offset:32
	ds_store_2addr_b32 v4, v7, v10 offset0:9 offset1:10
	ds_store_2addr_b32 v4, v12, v14 offset0:11 offset1:12
.LBB0_7:
	s_wait_alu 0xfffe
	s_or_b32 exec_lo, exec_lo, s4
	v_and_b32_e32 v0, 0xff, v35
	v_add_co_u32 v12, null, 0x9c, v35
	v_add_co_u32 v22, null, 0x138, v35
	s_delay_alu instid0(VALU_DEP_3) | instskip(NEXT) | instid1(VALU_DEP_3)
	v_mul_lo_u16 v1, 0x4f, v0
	v_and_b32_e32 v2, 0xffff, v12
	s_load_b128 s[4:7], s[2:3], 0x0
	s_delay_alu instid0(VALU_DEP_3)
	v_and_b32_e32 v3, 0xffff, v22
	global_wb scope:SCOPE_SE
	s_wait_dscnt 0x0
	v_lshrrev_b16 v10, 10, v1
	v_add_co_u32 v1, null, 0x1d4, v35
	v_mul_u32_u24_e32 v6, 0x4ec5, v2
	v_mul_u32_u24_e32 v7, 0x4ec5, v3
	s_delay_alu instid0(VALU_DEP_4) | instskip(NEXT) | instid1(VALU_DEP_4)
	v_mul_lo_u16 v4, v10, 13
	v_and_b32_e32 v5, 0xffff, v1
	s_wait_kmcnt 0x0
	s_barrier_signal -1
	v_lshrrev_b32_e32 v23, 18, v6
	v_lshrrev_b32_e32 v24, 18, v7
	v_sub_nc_u16 v4, v35, v4
	v_mul_u32_u24_e32 v5, 0x4ec5, v5
	s_barrier_wait -1
	global_inv scope:SCOPE_SE
	v_mul_u32_u24_e32 v8, 0xa41b, v2
	v_and_b32_e32 v25, 0xff, v4
	v_lshrrev_b32_e32 v26, 18, v5
	v_mul_lo_u16 v4, v23, 13
	v_mul_lo_u16 v5, v24, 13
	v_mul_u32_u24_e32 v9, 0xa41b, v3
	v_lshlrev_b32_e32 v6, 3, v25
	v_mul_lo_u16 v7, v26, 13
	v_sub_nc_u16 v27, v12, v4
	v_sub_nc_u16 v28, v22, v5
	v_lshrrev_b32_e32 v31, 16, v8
	global_load_b64 v[20:21], v6, s[0:1]
	v_sub_nc_u16 v29, v1, v7
	v_lshlrev_b16 v1, 1, v27
	v_lshlrev_b16 v4, 1, v28
	v_lshrrev_b32_e32 v32, 16, v9
	v_and_b32_e32 v33, 0xffff, v10
	v_lshlrev_b16 v5, 1, v29
	v_and_b32_e32 v1, 0xffff, v1
	v_and_b32_e32 v4, 0xffff, v4
	v_sub_nc_u16 v41, v12, v31
	v_sub_nc_u16 v42, v22, v32
	v_and_b32_e32 v5, 0xffff, v5
	v_lshlrev_b32_e32 v1, 2, v1
	v_lshlrev_b32_e32 v4, 2, v4
	v_mul_u32_u24_e32 v33, 39, v33
	v_lshrrev_b16 v43, 1, v41
	v_lshlrev_b32_e32 v5, 2, v5
	v_lshrrev_b16 v42, 1, v42
	s_clause 0x2
	global_load_b64 v[18:19], v1, s[0:1]
	global_load_b64 v[16:17], v4, s[0:1]
	;; [unrolled: 1-line block ×3, first 2 shown]
	v_mul_lo_u16 v4, 0xa5, v0
	v_and_b32_e32 v1, 0xffff, v35
	v_add_lshl_u32 v41, v33, v25, 2
	v_mad_u16 v23, v23, 39, v27
	v_mad_u16 v25, v26, 39, v29
	v_lshrrev_b16 v30, 8, v4
	v_lshlrev_b32_e32 v36, 2, v1
	v_add_nc_u16 v27, v43, v31
	v_mad_u16 v24, v24, 39, v28
	v_add_nc_u16 v28, v42, v32
	v_sub_nc_u16 v11, v35, v30
	v_add_nc_u32_e32 v83, 0x900, v36
	v_add_nc_u32_e32 v85, 0x1200, v36
	;; [unrolled: 1-line block ×3, first 2 shown]
	ds_load_2addr_b32 v[0:1], v36 offset1:156
	v_lshrrev_b16 v37, 1, v11
	ds_load_2addr_b32 v[2:3], v83 offset0:48 offset1:204
	ds_load_2addr_b32 v[4:5], v85 offset0:96 offset1:252
	;; [unrolled: 1-line block ×3, first 2 shown]
	v_add_nc_u32_e32 v87, 0xe00, v36
	v_add_nc_u32_e32 v86, 0x1800, v36
	v_and_b32_e32 v23, 0xffff, v23
	v_and_b32_e32 v37, 0x7f, v37
	v_lshrrev_b16 v27, 5, v27
	ds_load_2addr_b32 v[8:9], v87 offset0:40 offset1:196
	ds_load_2addr_b32 v[10:11], v86 offset0:24 offset1:180
	v_and_b32_e32 v24, 0xffff, v24
	v_add_nc_u16 v26, v37, v30
	v_and_b32_e32 v25, 0xffff, v25
	v_lshrrev_b16 v28, 5, v28
	v_lshlrev_b32_e32 v42, 2, v23
	v_mul_lo_u16 v23, v27, 39
	v_lshrrev_b16 v26, 5, v26
	v_lshlrev_b32_e32 v43, 2, v24
	v_mul_lo_u16 v24, v28, 39
	v_lshlrev_b32_e32 v44, 2, v25
	v_sub_nc_u16 v59, v12, v23
	v_and_b32_e32 v26, 7, v26
	s_wait_dscnt 0x4
	v_lshrrev_b32_e32 v29, 16, v2
	s_wait_dscnt 0x3
	v_lshrrev_b32_e32 v30, 16, v4
	v_sub_nc_u16 v60, v22, v24
	v_mul_lo_u16 v22, v59, 12
	v_mul_lo_u16 v25, v26, 39
	v_lshrrev_b32_e32 v31, 16, v3
	v_lshrrev_b32_e32 v32, 16, v5
	s_wait_dscnt 0x1
	v_lshrrev_b32_e32 v37, 16, v8
	s_wait_dscnt 0x0
	v_lshrrev_b32_e32 v47, 16, v10
	v_sub_nc_u16 v12, v35, v25
	v_lshrrev_b32_e32 v53, 16, v9
	v_lshrrev_b32_e32 v58, 16, v11
	;; [unrolled: 1-line block ×4, first 2 shown]
	v_and_b32_e32 v61, 0xff, v12
	v_and_b32_e32 v12, 0xffff, v22
	v_lshrrev_b32_e32 v48, 16, v7
	v_lshrrev_b32_e32 v33, 16, v6
	v_mul_lo_u16 v23, v60, 12
	global_wb scope:SCOPE_SE
	s_wait_loadcnt 0x0
	v_add_co_u32 v24, s2, s0, v12
	s_barrier_signal -1
	s_barrier_wait -1
	global_inv scope:SCOPE_SE
	v_and_b32_e32 v62, 0xffff, v23
	v_mad_co_u64_u32 v[22:23], null, v61, 12, s[0:1]
	s_wait_alu 0xf1ff
	v_add_co_ci_u32_e64 v25, null, s1, 0, s2
	v_lshrrev_b32_e32 v55, 16, v20
	v_lshrrev_b32_e32 v56, 16, v21
	s_delay_alu instid0(VALU_DEP_2) | instskip(NEXT) | instid1(VALU_DEP_2)
	v_mul_f16_e32 v49, v29, v55
	v_mul_f16_e32 v50, v30, v56
	;; [unrolled: 1-line block ×4, first 2 shown]
	s_delay_alu instid0(VALU_DEP_4) | instskip(NEXT) | instid1(VALU_DEP_4)
	v_fma_f16 v2, v2, v20, -v49
	v_fma_f16 v4, v4, v21, -v50
	s_delay_alu instid0(VALU_DEP_4) | instskip(NEXT) | instid1(VALU_DEP_4)
	v_fmac_f16_e32 v63, v29, v20
	v_fmac_f16_e32 v64, v30, v21
	s_delay_alu instid0(VALU_DEP_4) | instskip(NEXT) | instid1(VALU_DEP_4)
	v_add_f16_e32 v74, v0, v2
	v_add_f16_e32 v75, v2, v4
	v_lshrrev_b32_e32 v57, 16, v18
	v_lshrrev_b32_e32 v54, 16, v19
	;; [unrolled: 1-line block ×6, first 2 shown]
	v_mul_f16_e32 v12, v31, v57
	v_mul_f16_e32 v29, v3, v57
	;; [unrolled: 1-line block ×12, first 2 shown]
	v_sub_f16_e32 v76, v63, v64
	v_add_f16_e32 v77, v45, v63
	v_add_f16_e32 v63, v63, v64
	v_fma_f16 v3, v3, v18, -v12
	v_fmac_f16_e32 v29, v31, v18
	v_fma_f16 v5, v5, v19, -v30
	v_fmac_f16_e32 v65, v32, v19
	;; [unrolled: 2-line block ×6, first 2 shown]
	v_sub_f16_e32 v2, v2, v4
	v_fma_f16 v0, -0.5, v75, v0
	v_fmac_f16_e32 v45, -0.5, v63
	v_add_f16_e32 v32, v3, v5
	v_sub_f16_e32 v37, v29, v65
	v_add_f16_e32 v47, v46, v29
	v_add_f16_e32 v29, v29, v65
	;; [unrolled: 1-line block ×5, first 2 shown]
	v_sub_f16_e32 v70, v71, v73
	v_add_f16_e32 v72, v48, v71
	v_add_f16_e32 v71, v71, v73
	;; [unrolled: 1-line block ×4, first 2 shown]
	v_fmamk_f16 v30, v76, 0x3aee, v0
	v_fmamk_f16 v31, v2, 0xbaee, v45
	v_fmac_f16_e32 v45, 0x3aee, v2
	v_add_f16_e32 v2, v1, v3
	v_sub_f16_e32 v3, v3, v5
	v_fmac_f16_e32 v1, -0.5, v32
	v_fmac_f16_e32 v46, -0.5, v29
	v_fmac_f16_e32 v0, 0xbaee, v76
	v_add_f16_e32 v53, v6, v8
	v_sub_f16_e32 v63, v67, v69
	v_add_f16_e32 v64, v33, v67
	v_sub_f16_e32 v8, v8, v10
	v_fma_f16 v6, -0.5, v58, v6
	v_fmac_f16_e32 v33, -0.5, v66
	v_add_f16_e32 v67, v7, v9
	v_sub_f16_e32 v9, v9, v11
	v_fmac_f16_e32 v7, -0.5, v68
	v_fmac_f16_e32 v48, -0.5, v71
	v_pack_b32_f16 v4, v4, v12
	v_add_f16_e32 v2, v2, v5
	v_add_f16_e32 v5, v47, v65
	v_pack_b32_f16 v30, v30, v31
	v_fmamk_f16 v31, v37, 0x3aee, v1
	v_fmamk_f16 v32, v3, 0xbaee, v46
	v_pack_b32_f16 v0, v0, v45
	v_fmac_f16_e32 v1, 0xbaee, v37
	v_fmac_f16_e32 v46, 0x3aee, v3
	v_add_f16_e32 v10, v53, v10
	v_add_f16_e32 v12, v64, v69
	v_fmamk_f16 v3, v63, 0x3aee, v6
	v_fmamk_f16 v37, v8, 0xbaee, v33
	v_fmac_f16_e32 v6, 0xbaee, v63
	v_fmac_f16_e32 v33, 0x3aee, v8
	v_add_f16_e32 v11, v67, v11
	v_add_f16_e32 v29, v72, v73
	v_fmamk_f16 v8, v70, 0x3aee, v7
	v_fmamk_f16 v45, v9, 0xbaee, v48
	v_fmac_f16_e32 v7, 0xbaee, v70
	v_fmac_f16_e32 v48, 0x3aee, v9
	ds_store_2addr_b32 v41, v4, v30 offset1:13
	ds_store_b32 v41, v0 offset:104
	v_pack_b32_f16 v0, v2, v5
	v_pack_b32_f16 v5, v31, v32
	;; [unrolled: 1-line block ×9, first 2 shown]
	ds_store_2addr_b32 v42, v0, v5 offset1:13
	ds_store_b32 v42, v1 offset:104
	ds_store_2addr_b32 v43, v2, v3 offset1:13
	ds_store_b32 v43, v6 offset:104
	;; [unrolled: 2-line block ×3, first 2 shown]
	v_add_co_u32 v0, s2, s0, v62
	s_wait_alu 0xf1ff
	v_add_co_ci_u32_e64 v1, null, s1, 0, s2
	global_wb scope:SCOPE_SE
	s_wait_dscnt 0x0
	s_barrier_signal -1
	s_barrier_wait -1
	global_inv scope:SCOPE_SE
	s_clause 0x2
	global_load_b96 v[10:12], v[22:23], off offset:104
	global_load_b96 v[7:9], v[24:25], off offset:104
	global_load_b96 v[4:6], v[0:1], off offset:104
	ds_load_2addr_b32 v[0:1], v36 offset1:156
	ds_load_2addr_b32 v[2:3], v84 offset0:56 offset1:212
	ds_load_2addr_b32 v[22:23], v87 offset0:40 offset1:196
	;; [unrolled: 1-line block ×3, first 2 shown]
	v_and_b32_e32 v30, 0xffff, v26
	v_mad_u16 v31, 0x9c, v27, v59
	v_mad_u16 v32, 0x9c, v28, v60
	ds_load_2addr_b32 v[26:27], v83 offset0:48 offset1:204
	ds_load_2addr_b32 v[28:29], v86 offset0:24 offset1:180
	global_wb scope:SCOPE_SE
	s_wait_loadcnt_dscnt 0x0
	v_mul_u32_u24_e32 v33, 0x9c, v30
	v_and_b32_e32 v37, 0xffff, v31
	v_and_b32_e32 v32, 0xffff, v32
	v_mad_co_u64_u32 v[30:31], null, v35, 20, s[0:1]
	s_delay_alu instid0(VALU_DEP_4) | instskip(NEXT) | instid1(VALU_DEP_4)
	v_add_lshl_u32 v47, v33, v61, 2
	v_lshlrev_b32_e32 v46, 2, v37
	s_delay_alu instid0(VALU_DEP_4)
	v_lshlrev_b32_e32 v45, 2, v32
	s_barrier_signal -1
	s_barrier_wait -1
	global_inv scope:SCOPE_SE
	v_lshrrev_b32_e32 v32, 16, v0
	v_lshrrev_b32_e32 v33, 16, v3
	;; [unrolled: 1-line block ×21, first 2 shown]
	v_mul_f16_e32 v74, v33, v65
	v_mul_f16_e32 v75, v3, v65
	;; [unrolled: 1-line block ×18, first 2 shown]
	v_fma_f16 v3, v3, v10, -v74
	v_fmac_f16_e32 v75, v33, v10
	v_fma_f16 v22, v22, v11, -v76
	v_fmac_f16_e32 v77, v37, v11
	;; [unrolled: 2-line block ×9, first 2 shown]
	v_sub_f16_e32 v22, v0, v22
	v_sub_f16_e32 v33, v32, v77
	v_sub_f16_e32 v25, v3, v25
	v_sub_f16_e32 v37, v75, v79
	v_sub_f16_e32 v23, v1, v23
	v_sub_f16_e32 v48, v66, v88
	v_sub_f16_e32 v28, v26, v28
	v_sub_f16_e32 v67, v81, v90
	v_sub_f16_e32 v24, v2, v24
	v_sub_f16_e32 v68, v70, v94
	v_sub_f16_e32 v29, v27, v29
	v_sub_f16_e32 v69, v92, v96
	v_fma_f16 v0, v0, 2.0, -v22
	v_fma_f16 v32, v32, 2.0, -v33
	;; [unrolled: 1-line block ×12, first 2 shown]
	v_sub_f16_e32 v37, v22, v37
	v_add_f16_e32 v25, v33, v25
	v_sub_f16_e32 v3, v0, v3
	v_sub_f16_e32 v71, v32, v71
	v_sub_f16_e32 v67, v23, v67
	v_add_f16_e32 v28, v48, v28
	v_sub_f16_e32 v26, v1, v26
	v_sub_f16_e32 v72, v66, v72
	;; [unrolled: 4-line block ×3, first 2 shown]
	v_fma_f16 v22, v22, 2.0, -v37
	v_fma_f16 v33, v33, 2.0, -v25
	v_fma_f16 v0, v0, 2.0, -v3
	v_fma_f16 v32, v32, 2.0, -v71
	v_fma_f16 v23, v23, 2.0, -v67
	v_fma_f16 v48, v48, 2.0, -v28
	v_pack_b32_f16 v25, v37, v25
	v_fma_f16 v1, v1, 2.0, -v26
	v_fma_f16 v37, v66, 2.0, -v72
	;; [unrolled: 1-line block ×6, first 2 shown]
	v_pack_b32_f16 v3, v3, v71
	v_pack_b32_f16 v22, v22, v33
	;; [unrolled: 1-line block ×11, first 2 shown]
	ds_store_2addr_b32 v47, v3, v25 offset0:78 offset1:117
	ds_store_2addr_b32 v47, v0, v22 offset1:39
	ds_store_2addr_b32 v46, v1, v23 offset1:39
	ds_store_2addr_b32 v46, v26, v28 offset0:78 offset1:117
	ds_store_2addr_b32 v45, v2, v24 offset1:39
	ds_store_2addr_b32 v45, v27, v29 offset0:78 offset1:117
	global_wb scope:SCOPE_SE
	s_wait_dscnt 0x0
	s_barrier_signal -1
	s_barrier_wait -1
	global_inv scope:SCOPE_SE
	s_clause 0x1
	global_load_b128 v[0:3], v[30:31], off offset:572
	global_load_b32 v48, v[30:31], off offset:588
	ds_load_2addr_b32 v[22:23], v36 offset1:156
	ds_load_2addr_b32 v[24:25], v84 offset0:56 offset1:212
	ds_load_2addr_b32 v[26:27], v83 offset0:48 offset1:204
	;; [unrolled: 1-line block ×5, first 2 shown]
	v_lshlrev_b32_e32 v37, 4, v35
	global_wb scope:SCOPE_SE
	s_wait_loadcnt_dscnt 0x0
	s_barrier_signal -1
	s_barrier_wait -1
	global_inv scope:SCOPE_SE
	v_sub_co_u32 v30, s0, v30, v37
	s_wait_alu 0xf1ff
	v_subrev_co_ci_u32_e64 v31, s0, 0, v31, s0
	v_lshrrev_b32_e32 v37, 16, v22
	v_lshrrev_b32_e32 v68, 16, v24
	;; [unrolled: 1-line block ×17, first 2 shown]
	v_mul_f16_e32 v91, v69, v75
	v_mul_f16_e32 v92, v26, v75
	;; [unrolled: 1-line block ×19, first 2 shown]
	v_fma_f16 v26, v26, v1, -v91
	v_fma_f16 v28, v28, v2, -v94
	v_fmac_f16_e32 v92, v69, v1
	v_fmac_f16_e32 v95, v70, v2
	;; [unrolled: 1-line block ×4, first 2 shown]
	v_fma_f16 v32, v32, v3, -v100
	v_fma_f16 v66, v66, v48, -v103
	v_mul_f16_e32 v105, v82, v73
	v_fma_f16 v24, v24, v0, -v89
	v_fma_f16 v29, v29, v2, -v98
	v_fmac_f16_e32 v90, v68, v0
	v_fmac_f16_e32 v99, v80, v1
	v_fmac_f16_e32 v101, v81, v2
	v_fmac_f16_e32 v106, v82, v3
	v_fma_f16 v67, v67, v48, -v107
	v_fmac_f16_e32 v108, v88, v48
	v_fma_f16 v25, v25, v0, -v93
	v_fma_f16 v27, v27, v1, -v96
	v_fmac_f16_e32 v97, v79, v0
	v_add_f16_e32 v69, v26, v32
	v_add_f16_e32 v77, v92, v102
	;; [unrolled: 1-line block ×4, first 2 shown]
	v_fma_f16 v33, v33, v3, -v105
	v_add_f16_e32 v68, v22, v26
	v_add_f16_e32 v71, v37, v92
	;; [unrolled: 1-line block ×7, first 2 shown]
	v_sub_f16_e32 v70, v92, v102
	v_sub_f16_e32 v26, v26, v32
	;; [unrolled: 1-line block ×4, first 2 shown]
	v_add_f16_e32 v89, v23, v27
	v_sub_f16_e32 v92, v99, v106
	v_add_f16_e32 v93, v78, v99
	v_add_f16_e32 v95, v25, v29
	;; [unrolled: 1-line block ×3, first 2 shown]
	v_fmac_f16_e32 v37, -0.5, v77
	v_fmac_f16_e32 v24, -0.5, v80
	;; [unrolled: 1-line block ×3, first 2 shown]
	v_fma_f16 v22, -0.5, v69, v22
	v_add_f16_e32 v91, v27, v33
	v_sub_f16_e32 v27, v27, v33
	v_sub_f16_e32 v98, v101, v108
	;; [unrolled: 1-line block ×3, first 2 shown]
	v_add_f16_e32 v32, v68, v32
	v_add_f16_e32 v68, v71, v102
	;; [unrolled: 1-line block ×4, first 2 shown]
	v_fmac_f16_e32 v78, -0.5, v94
	v_fmac_f16_e32 v25, -0.5, v96
	;; [unrolled: 1-line block ×3, first 2 shown]
	v_add_f16_e32 v33, v89, v33
	v_add_f16_e32 v69, v93, v106
	;; [unrolled: 1-line block ×4, first 2 shown]
	v_fmamk_f16 v79, v70, 0x3aee, v22
	v_fmac_f16_e32 v22, 0xbaee, v70
	v_fmamk_f16 v70, v26, 0xbaee, v37
	v_fmac_f16_e32 v37, 0x3aee, v26
	v_fmamk_f16 v26, v81, 0x3aee, v24
	v_fmamk_f16 v80, v28, 0xbaee, v90
	v_fmac_f16_e32 v24, 0xbaee, v81
	v_fmac_f16_e32 v90, 0x3aee, v28
	v_fmac_f16_e32 v23, -0.5, v91
	v_add_f16_e32 v28, v32, v66
	v_add_f16_e32 v81, v68, v71
	v_sub_f16_e32 v32, v32, v66
	v_sub_f16_e32 v66, v68, v71
	v_fmamk_f16 v71, v27, 0xbaee, v78
	v_fmac_f16_e32 v78, 0x3aee, v27
	v_fmamk_f16 v27, v98, 0x3aee, v25
	v_fmamk_f16 v82, v29, 0xbaee, v97
	v_fmac_f16_e32 v25, 0xbaee, v98
	v_fmac_f16_e32 v97, 0x3aee, v29
	v_add_f16_e32 v29, v33, v67
	v_add_f16_e32 v88, v69, v77
	v_sub_f16_e32 v33, v33, v67
	v_sub_f16_e32 v67, v69, v77
	v_mul_f16_e32 v69, 0x3aee, v80
	v_mul_f16_e32 v89, 0xbaee, v26
	v_mul_f16_e32 v77, -0.5, v24
	v_mul_f16_e32 v91, -0.5, v90
	v_fmamk_f16 v68, v92, 0x3aee, v23
	v_fmac_f16_e32 v23, 0xbaee, v92
	v_mul_f16_e32 v92, 0x3aee, v82
	v_mul_f16_e32 v94, 0xbaee, v27
	v_mul_f16_e32 v93, -0.5, v25
	v_pack_b32_f16 v28, v28, v81
	v_mul_f16_e32 v81, -0.5, v97
	v_fmac_f16_e32 v69, 0.5, v26
	v_fmac_f16_e32 v89, 0.5, v80
	v_fmac_f16_e32 v77, 0x3aee, v90
	v_fmac_f16_e32 v91, 0xbaee, v24
	v_fmac_f16_e32 v92, 0.5, v27
	v_fmac_f16_e32 v94, 0.5, v82
	v_fmac_f16_e32 v93, 0x3aee, v97
	v_fmac_f16_e32 v81, 0xbaee, v25
	v_add_f16_e32 v24, v79, v69
	v_add_f16_e32 v26, v70, v89
	;; [unrolled: 1-line block ×4, first 2 shown]
	v_pack_b32_f16 v32, v32, v66
	v_pack_b32_f16 v33, v33, v67
	v_sub_f16_e32 v66, v79, v69
	v_sub_f16_e32 v22, v22, v77
	;; [unrolled: 1-line block ×4, first 2 shown]
	v_add_f16_e32 v69, v68, v92
	v_add_f16_e32 v77, v71, v94
	;; [unrolled: 1-line block ×4, first 2 shown]
	v_sub_f16_e32 v68, v68, v92
	v_sub_f16_e32 v71, v71, v94
	;; [unrolled: 1-line block ×4, first 2 shown]
	v_pack_b32_f16 v24, v24, v26
	v_pack_b32_f16 v25, v25, v27
	;; [unrolled: 1-line block ×9, first 2 shown]
	ds_store_2addr_b32 v36, v28, v24 offset1:156
	ds_store_2addr_b32 v84, v25, v32 offset0:56 offset1:212
	ds_store_2addr_b32 v83, v26, v22 offset0:48 offset1:204
	ds_store_2addr_b32 v87, v29, v27 offset0:40 offset1:196
	ds_store_2addr_b32 v85, v37, v33 offset0:96 offset1:252
	ds_store_2addr_b32 v86, v66, v23 offset0:24 offset1:180
	global_wb scope:SCOPE_SE
	s_wait_dscnt 0x0
	s_barrier_signal -1
	s_barrier_wait -1
	global_inv scope:SCOPE_SE
	s_clause 0x5
	global_load_b32 v66, v[30:31], off offset:3692
	global_load_b32 v69, v[30:31], off offset:4316
	;; [unrolled: 1-line block ×6, first 2 shown]
	ds_load_2addr_b32 v[99:100], v36 offset1:156
	ds_load_2addr_b32 v[22:23], v87 offset0:40 offset1:196
	ds_load_2addr_b32 v[91:92], v84 offset0:56 offset1:212
	;; [unrolled: 1-line block ×5, first 2 shown]
	v_lshlrev_b32_e32 v37, 2, v35
	s_wait_dscnt 0x5
	v_lshrrev_b32_e32 v93, 16, v99
	s_wait_dscnt 0x4
	v_lshrrev_b32_e32 v28, 16, v22
	v_lshrrev_b32_e32 v29, 16, v23
	s_wait_dscnt 0x2
	v_lshrrev_b32_e32 v31, 16, v24
	;; [unrolled: 3-line block ×3, first 2 shown]
	v_lshrrev_b32_e32 v88, 16, v27
	v_lshrrev_b32_e32 v103, 16, v100
	;; [unrolled: 1-line block ×4, first 2 shown]
	s_wait_dscnt 0x0
	v_lshrrev_b32_e32 v104, 16, v101
	v_lshrrev_b32_e32 v105, 16, v102
	s_wait_loadcnt 0x5
	v_lshrrev_b32_e32 v82, 16, v66
	s_wait_loadcnt 0x4
	;; [unrolled: 2-line block ×6, first 2 shown]
	v_lshrrev_b32_e32 v77, 16, v68
	v_mul_f16_e32 v89, v28, v82
	v_mul_f16_e32 v90, v22, v82
	;; [unrolled: 1-line block ×12, first 2 shown]
	v_fma_f16 v22, v22, v66, -v89
	v_fma_f16 v89, v23, v69, -v94
	v_fmac_f16_e32 v90, v28, v66
	v_fmac_f16_e32 v95, v29, v69
	v_fma_f16 v24, v24, v70, -v97
	v_fmac_f16_e32 v98, v31, v70
	v_fma_f16 v25, v25, v67, -v106
	;; [unrolled: 2-line block ×3, first 2 shown]
	v_fma_f16 v28, v27, v68, -v109
	v_fmac_f16_e32 v110, v33, v71
	v_fmac_f16_e32 v111, v88, v68
	v_sub_f16_e32 v23, v99, v22
	v_sub_f16_e32 v97, v93, v90
	v_sub_f16_e32 v31, v100, v89
	v_sub_f16_e32 v95, v103, v95
	v_sub_f16_e32 v33, v91, v24
	v_sub_f16_e32 v94, v30, v98
	v_sub_f16_e32 v29, v92, v25
	v_sub_f16_e32 v90, v96, v107
	v_sub_f16_e32 v89, v104, v110
	v_sub_f16_e32 v88, v105, v111
	v_sub_f16_e32 v27, v101, v26
	v_sub_f16_e32 v25, v102, v28
	v_pack_b32_f16 v106, v23, v97
	v_pack_b32_f16 v107, v31, v95
	v_fma_f16 v32, v91, 2.0, -v33
	v_fma_f16 v28, v92, 2.0, -v29
	;; [unrolled: 1-line block ×12, first 2 shown]
	v_pack_b32_f16 v108, v33, v94
	v_pack_b32_f16 v109, v29, v90
	;; [unrolled: 1-line block ×4, first 2 shown]
	ds_store_2addr_b32 v87, v106, v107 offset0:40 offset1:196
	v_pack_b32_f16 v87, v32, v98
	v_pack_b32_f16 v100, v28, v96
	;; [unrolled: 1-line block ×6, first 2 shown]
	ds_store_2addr_b32 v85, v108, v109 offset0:96 offset1:252
	ds_store_2addr_b32 v86, v110, v111 offset0:24 offset1:180
	;; [unrolled: 1-line block ×4, first 2 shown]
	ds_store_2addr_b32 v36, v103, v104 offset1:156
	global_wb scope:SCOPE_SE
	s_wait_dscnt 0x0
	s_barrier_signal -1
	s_barrier_wait -1
	global_inv scope:SCOPE_SE
	s_and_saveexec_b32 s2, vcc_lo
	s_cbranch_execz .LBB0_9
; %bb.8:
	global_load_b32 v83, v34, s[20:21] offset:7488
	s_add_nc_u64 s[0:1], s[20:21], 0x1d40
	s_clause 0xb
	global_load_b32 v87, v34, s[0:1] offset:576
	global_load_b32 v108, v34, s[0:1] offset:1152
	;; [unrolled: 1-line block ×12, first 2 shown]
	ds_load_b32 v84, v36
	v_add_nc_u32_e32 v119, 0x200, v37
	v_add_nc_u32_e32 v120, 0x600, v37
	;; [unrolled: 1-line block ×6, first 2 shown]
	s_wait_dscnt 0x0
	v_lshrrev_b32_e32 v85, 16, v84
	s_wait_loadcnt 0xb
	v_lshrrev_b32_e32 v125, 16, v87
	s_wait_loadcnt 0xa
	;; [unrolled: 2-line block ×8, first 2 shown]
	v_lshrrev_b32_e32 v132, 16, v114
	v_lshrrev_b32_e32 v86, 16, v83
	s_wait_loadcnt 0x3
	v_lshrrev_b32_e32 v133, 16, v115
	s_wait_loadcnt 0x2
	v_lshrrev_b32_e32 v134, 16, v116
	s_wait_loadcnt 0x1
	v_lshrrev_b32_e32 v135, 16, v117
	s_wait_loadcnt 0x0
	v_lshrrev_b32_e32 v136, 16, v118
	v_mul_f16_e32 v100, v85, v86
	v_mul_f16_e32 v86, v84, v86
	s_delay_alu instid0(VALU_DEP_2) | instskip(NEXT) | instid1(VALU_DEP_2)
	v_fma_f16 v84, v84, v83, -v100
	v_fmac_f16_e32 v86, v85, v83
	s_delay_alu instid0(VALU_DEP_1)
	v_pack_b32_f16 v83, v84, v86
	ds_store_b32 v36, v83
	ds_load_2addr_b32 v[83:84], v119 offset0:16 offset1:160
	ds_load_2addr_b32 v[85:86], v120 offset0:48 offset1:192
	;; [unrolled: 1-line block ×6, first 2 shown]
	s_wait_dscnt 0x5
	v_lshrrev_b32_e32 v137, 16, v83
	v_lshrrev_b32_e32 v139, 16, v84
	s_wait_dscnt 0x4
	v_lshrrev_b32_e32 v141, 16, v85
	v_lshrrev_b32_e32 v143, 16, v86
	;; [unrolled: 3-line block ×5, first 2 shown]
	v_mul_f16_e64 v138, v83, v125
	v_mul_f16_e64 v140, v84, v126
	s_wait_dscnt 0x0
	v_lshrrev_b32_e32 v157, 16, v106
	v_lshrrev_b32_e32 v159, 16, v107
	v_mul_f16_e64 v125, v137, v125
	v_mul_f16_e64 v126, v139, v126
	;; [unrolled: 1-line block ×20, first 2 shown]
	v_fmac_f16_e64 v138, v137, v87
	v_fmac_f16_e64 v140, v139, v108
	v_mul_f16_e64 v135, v157, v135
	v_mul_f16_e64 v136, v159, v136
	v_fma_f16 v83, v83, v87, -v125
	v_fma_f16 v84, v84, v108, -v126
	v_fmac_f16_e64 v142, v141, v109
	v_fmac_f16_e64 v144, v143, v110
	v_fma_f16 v85, v85, v109, -v127
	v_fma_f16 v86, v86, v110, -v128
	v_fmac_f16_e64 v146, v145, v111
	v_fmac_f16_e64 v148, v147, v112
	v_fma_f16 v87, v100, v111, -v129
	v_fma_f16 v100, v101, v112, -v130
	v_fmac_f16_e64 v150, v149, v113
	v_fmac_f16_e64 v152, v151, v114
	v_fma_f16 v101, v102, v113, -v131
	v_fma_f16 v102, v103, v114, -v132
	v_fmac_f16_e64 v154, v153, v115
	v_fmac_f16_e64 v156, v155, v116
	v_fma_f16 v103, v104, v115, -v133
	v_fma_f16 v104, v105, v116, -v134
	v_fmac_f16_e64 v158, v157, v117
	v_fmac_f16_e64 v160, v159, v118
	v_fma_f16 v105, v106, v117, -v135
	v_fma_f16 v106, v107, v118, -v136
	v_pack_b32_f16 v83, v83, v138
	v_pack_b32_f16 v84, v84, v140
	;; [unrolled: 1-line block ×12, first 2 shown]
	ds_store_2addr_b32 v119, v83, v84 offset0:16 offset1:160
	ds_store_2addr_b32 v120, v85, v86 offset0:48 offset1:192
	;; [unrolled: 1-line block ×6, first 2 shown]
.LBB0_9:
	s_wait_alu 0xfffe
	s_or_b32 exec_lo, exec_lo, s2
	global_wb scope:SCOPE_SE
	s_wait_dscnt 0x0
	s_barrier_signal -1
	s_barrier_wait -1
	global_inv scope:SCOPE_SE
	s_and_saveexec_b32 s0, vcc_lo
	s_cbranch_execz .LBB0_11
; %bb.10:
	v_add_nc_u32_e32 v24, 0x400, v36
	v_add_nc_u32_e32 v25, 0x800, v36
	v_add_nc_u32_e32 v26, 0xc00, v36
	ds_load_2addr_b32 v[22:23], v36 offset1:144
	ds_load_2addr_b32 v[30:31], v24 offset0:32 offset1:176
	v_add_nc_u32_e32 v24, 0x1200, v36
	ds_load_2addr_b32 v[32:33], v25 offset0:64 offset1:208
	v_add_nc_u32_e32 v25, 0x1600, v36
	ds_load_2addr_b32 v[28:29], v26 offset0:96 offset1:240
	ds_load_2addr_b32 v[26:27], v24 offset1:144
	ds_load_2addr_b32 v[24:25], v25 offset0:32 offset1:176
	ds_load_b32 v39, v36 offset:6912
	s_wait_dscnt 0x6
	v_lshrrev_b32_e32 v93, 16, v22
	v_lshrrev_b32_e32 v97, 16, v23
	s_wait_dscnt 0x5
	v_lshrrev_b32_e32 v99, 16, v30
	v_lshrrev_b32_e32 v95, 16, v31
	;; [unrolled: 3-line block ×6, first 2 shown]
	s_wait_dscnt 0x0
	v_lshrrev_b32_e32 v40, 16, v39
.LBB0_11:
	s_wait_alu 0xfffe
	s_or_b32 exec_lo, exec_lo, s0
	global_wb scope:SCOPE_SE
	s_barrier_signal -1
	s_barrier_wait -1
	global_inv scope:SCOPE_SE
	s_and_saveexec_b32 s0, vcc_lo
	s_cbranch_execz .LBB0_13
; %bb.12:
	v_sub_f16_e32 v87, v23, v39
	v_add_f16_e32 v117, v40, v97
	v_sub_f16_e32 v85, v30, v25
	v_add_f16_e32 v115, v88, v99
	v_sub_f16_e32 v83, v31, v24
	v_mul_f16_e32 v125, 0xba95, v87
	v_add_f16_e32 v114, v91, v95
	v_mul_f16_e32 v126, 0xbb7b, v85
	v_sub_f16_e32 v84, v32, v27
	v_mul_f16_e32 v127, 0xb3a8, v83
	v_fmamk_f16 v100, v117, 0x388b, v125
	v_add_f16_e32 v112, v89, v98
	v_fmamk_f16 v101, v115, 0xb5ac, v126
	v_sub_f16_e32 v86, v33, v26
	v_sub_f16_e32 v118, v97, v40
	v_add_f16_e32 v100, v93, v100
	v_mul_f16_e64 v128, 0x394e, v84
	v_fmamk_f16 v103, v114, 0xbbc4, v127
	v_add_f16_e32 v110, v92, v94
	v_add_f16_e32 v102, v39, v23
	;; [unrolled: 1-line block ×3, first 2 shown]
	v_sub_f16_e32 v119, v99, v88
	v_mul_f16_e64 v129, 0x3bf1, v86
	v_mul_f16_e64 v130, 0xba95, v118
	v_fma_f16 v101, 0xb9fd, v112, v128
	v_add_f16_e32 v100, v103, v100
	v_add_f16_e32 v103, v25, v30
	v_mul_f16_e32 v124, 0xbb7b, v119
	v_fma_f16 v104, 0x2fb7, v110, v129
	v_fma_f16 v105, v102, 0x388b, -v130
	v_add_f16_e32 v101, v101, v100
	v_sub_f16_e32 v122, v95, v91
	v_sub_f16_e32 v100, v28, v29
	v_fma_f16 v106, v103, 0xb5ac, -v124
	v_add_f16_e32 v105, v22, v105
	v_add_f16_e32 v101, v104, v101
	;; [unrolled: 1-line block ×3, first 2 shown]
	v_mul_f16_e64 v131, 0xb3a8, v122
	v_sub_f16_e32 v113, v98, v89
	v_mul_f16_e64 v132, 0x3770, v100
	v_add_f16_e32 v111, v90, v96
	v_add_f16_e32 v106, v106, v105
	v_fma_f16 v107, v104, 0xbbc4, -v131
	v_add_f16_e32 v105, v27, v32
	v_mul_f16_e64 v133, 0x394e, v113
	v_fma_f16 v108, 0x3b15, v111, v132
	v_mul_f16_e64 v134, 0xbbf1, v87
	v_add_f16_e32 v107, v107, v106
	v_mul_f16_e64 v136, 0xb3a8, v85
	v_fma_f16 v109, v105, 0xb9fd, -v133
	v_add_f16_e32 v101, v108, v101
	v_mul_f16_e64 v138, 0x3b7b, v83
	v_sub_f16_e32 v116, v94, v92
	v_fma_f16 v123, 0xbbc4, v115, v136
	v_add_f16_e32 v108, v109, v107
	v_fma_f16 v109, 0x2fb7, v117, v134
	v_mul_f16_e64 v140, 0x3770, v84
	v_add_f16_e32 v106, v26, v33
	v_mul_f16_e64 v135, 0x3bf1, v116
	v_sub_f16_e32 v120, v96, v90
	v_add_f16_e32 v109, v93, v109
	v_mul_f16_e64 v142, 0xba95, v86
	v_add_f16_e32 v107, v29, v28
	v_fma_f16 v121, v106, 0x2fb7, -v135
	v_mul_f16_e64 v137, 0x3770, v120
	v_add_f16_e32 v109, v123, v109
	v_fma_f16 v123, 0xb5ac, v114, v138
	v_mul_f16_e64 v145, 0xb94e, v100
	v_add_f16_e32 v108, v121, v108
	v_fma_f16 v121, v107, 0x3b15, -v137
	v_mul_f16_e64 v139, 0xbbf1, v118
	v_add_f16_e32 v109, v123, v109
	v_fma_f16 v123, 0x3b15, v112, v140
	;; [unrolled: 6-line block ×4, first 2 shown]
	v_fma_f16 v151, 0xb9fd, v115, v149
	v_mul_f16_e64 v152, 0x3770, v83
	v_add_f16_e64 v121, v143, v121
	v_fma_f16 v143, v104, 0xb5ac, -v144
	v_add_f16_e32 v109, v123, v109
	v_fma_f16 v123, 0xb5ac, v117, v147
	v_mul_f16_e64 v146, 0x3770, v113
	v_mul_f16_e64 v154, 0xbbf1, v84
	v_add_f16_e64 v121, v143, v121
	v_mul_f16_e64 v148, 0xba95, v116
	v_add_f16_e32 v123, v93, v123
	v_fma_f16 v143, v105, 0x3b15, -v146
	v_mul_f16_e64 v156, 0x33a8, v86
	v_mul_f16_e64 v150, 0xb94e, v120
	;; [unrolled: 1-line block ×3, first 2 shown]
	v_add_f16_e64 v123, v151, v123
	v_fma_f16 v151, 0x3b15, v114, v152
	v_add_f16_e64 v121, v143, v121
	v_fma_f16 v143, v106, 0x388b, -v148
	v_mul_f16_e64 v153, 0xbb7b, v118
	v_mul_f16_e64 v161, 0xb94e, v87
	v_add_f16_e64 v123, v151, v123
	v_fma_f16 v151, 0x2fb7, v112, v154
	v_add_f16_e64 v121, v143, v121
	v_fma_f16 v143, v107, 0xb9fd, -v150
	v_mul_f16_e64 v155, 0x394e, v119
	v_mul_f16_e64 v163, 0x3bf1, v85
	v_add_f16_e64 v123, v151, v123
	v_fma_f16 v151, 0xbbc4, v110, v156
	v_add_f16_e64 v121, v143, v121
	v_fma_f16 v143, v102, 0xb5ac, -v153
	v_fma_f16 v157, v103, 0xb9fd, -v155
	v_mul_f16_e64 v158, 0x3770, v122
	v_add_f16_e64 v123, v151, v123
	v_fma_f16 v151, 0x388b, v111, v159
	v_add_f16_e64 v143, v22, v143
	v_fma_f16 v165, 0x2fb7, v115, v163
	v_mul_f16_e64 v166, 0xba95, v83
	v_mul_f16_e64 v160, 0xbbf1, v113
	v_add_f16_e64 v123, v151, v123
	v_fma_f16 v151, 0xb9fd, v117, v161
	v_add_f16_e64 v143, v157, v143
	v_fma_f16 v157, v104, 0x3b15, -v158
	v_mul_f16_e64 v168, 0x33a8, v84
	v_fma_f16 v125, v117, 0x388b, -v125
	v_add_f16_e64 v151, v93, v151
	v_mul_f16_e64 v162, 0x33a8, v116
	v_add_f16_e64 v143, v157, v143
	v_fma_f16 v157, v105, 0x2fb7, -v160
	v_mul_f16_e64 v170, 0x3770, v86
	v_add_f16_e64 v151, v165, v151
	v_fma_f16 v165, 0x388b, v114, v166
	v_add_f16_e32 v125, v93, v125
	v_fma_f16 v126, v115, 0xb5ac, -v126
	v_add_f16_e64 v143, v157, v143
	v_fma_f16 v157, v106, 0xbbc4, -v162
	v_add_f16_e64 v151, v165, v151
	v_fma_f16 v165, 0xbbc4, v112, v168
	v_mul_f16_e64 v164, 0x3a95, v120
	v_mul_f16_e64 v173, 0xbb7b, v100
	v_add_f16_e32 v125, v126, v125
	v_fma_f16 v126, v114, 0xbbc4, -v127
	v_add_f16_e64 v151, v165, v151
	v_fma_f16 v165, 0x3b15, v110, v170
	v_add_f16_e64 v143, v157, v143
	v_fma_f16 v157, v107, 0x388b, -v164
	v_mul_f16_e64 v167, 0xb94e, v118
	v_mul_f16_e64 v175, 0xb3a8, v87
	v_add_f16_e64 v151, v165, v151
	v_fma_f16 v165, 0xb5ac, v111, v173
	v_add_f16_e32 v125, v126, v125
	v_fma_f16 v126, v112, 0xb9fd, -v128
	v_add_f16_e64 v143, v157, v143
	v_fma_f16 v157, v102, 0xb9fd, -v167
	v_mul_f16_e64 v169, 0x3bf1, v119
	v_add_f16_e64 v151, v165, v151
	v_fma_f16 v165, 0xbbc4, v117, v175
	v_mul_f16_e64 v177, 0x3770, v85
	v_fma_f16 v175, v117, 0xbbc4, -v175
	v_fma_f16 v161, v117, 0xb9fd, -v161
	;; [unrolled: 1-line block ×4, first 2 shown]
	v_fmac_f16_e64 v130, 0x388b, v102
	v_add_f16_e32 v125, v126, v125
	v_fma_f16 v126, v110, 0x2fb7, -v129
	v_mul_f16_e32 v117, 0x3b15, v117
	v_add_f16_e64 v157, v22, v157
	v_fma_f16 v171, v103, 0x2fb7, -v169
	v_mul_f16_e64 v172, 0xba95, v122
	v_add_f16_e64 v165, v93, v165
	v_fma_f16 v179, 0x3b15, v115, v177
	v_mul_f16_e64 v180, 0xb94e, v83
	v_add_f16_e64 v175, v93, v175
	v_fma_f16 v177, v115, 0x3b15, -v177
	v_add_f16_e64 v161, v93, v161
	v_fma_f16 v163, v115, 0x2fb7, -v163
	;; [unrolled: 2-line block ×4, first 2 shown]
	v_add_f16_e64 v128, v22, v130
	v_fmac_f16_e32 v124, 0xb5ac, v103
	v_add_f16_e32 v125, v126, v125
	v_fmamk_f16 v126, v87, 0x3770, v117
	v_mul_f16_e32 v115, 0x388b, v115
	v_add_f16_e64 v157, v171, v157
	v_fma_f16 v171, v104, 0x388b, -v172
	v_mul_f16_e64 v174, 0x33a8, v113
	v_add_f16_e64 v165, v179, v165
	v_fma_f16 v179, 0xb9fd, v114, v180
	v_mul_f16_e64 v182, 0x3a95, v84
	v_add_f16_e64 v175, v177, v175
	v_fma_f16 v177, v114, 0xb9fd, -v180
	v_add_f16_e64 v161, v163, v161
	v_fma_f16 v163, v114, 0x388b, -v166
	;; [unrolled: 2-line block ×5, first 2 shown]
	v_add_f16_e32 v126, v93, v126
	v_fma_f16 v129, 0x3a95, v85, v115
	v_mul_f16_e32 v114, 0x2fb7, v114
	v_add_f16_e64 v157, v171, v157
	v_fma_f16 v171, v105, 0xbbc4, -v174
	v_mul_f16_e64 v176, 0x3770, v116
	v_mul_f16_e64 v181, 0xb3a8, v118
	v_add_f16_e64 v165, v179, v165
	v_fma_f16 v179, 0x388b, v112, v182
	v_add_f16_e64 v175, v177, v175
	v_fma_f16 v177, v112, 0x388b, -v182
	v_add_f16_e64 v161, v163, v161
	v_fma_f16 v163, v112, 0xbbc4, -v168
	;; [unrolled: 2-line block ×4, first 2 shown]
	v_add_f16_e64 v125, v128, v125
	v_add_f16_e64 v126, v129, v126
	v_fma_f16 v128, 0x3bf1, v83, v114
	v_mul_f16_e32 v112, 0xb5ac, v112
	v_mul_f16_e32 v118, 0xb770, v118
	v_add_f16_e64 v157, v171, v157
	v_fma_f16 v171, v106, 0x3b15, -v176
	v_mul_f16_e64 v178, 0xbb7b, v120
	v_mul_f16_e64 v183, 0x3770, v119
	v_mul_f16_e64 v184, 0xbb7b, v86
	v_add_f16_e64 v126, v128, v126
	v_fma_f16 v128, 0x3b7b, v84, v112
	v_fma_f16 v129, 0x3b15, v102, v118
	v_mul_f16_e32 v119, 0xba95, v119
	v_add_f16_e32 v23, v23, v22
	v_add_f16_e32 v97, v97, v93
	v_add_f16_e64 v157, v171, v157
	v_fma_f16 v171, v107, 0xb5ac, -v178
	v_mul_f16_e64 v186, 0xb94e, v122
	v_add_f16_e64 v165, v179, v165
	v_fma_f16 v179, 0xb5ac, v110, v184
	v_add_f16_e64 v175, v177, v175
	v_fma_f16 v177, v110, 0xb5ac, -v184
	v_add_f16_e64 v161, v163, v161
	v_fma_f16 v163, v110, 0x3b15, -v170
	;; [unrolled: 2-line block ×4, first 2 shown]
	v_mul_f16_e32 v110, 0xb9fd, v110
	v_add_f16_e64 v126, v128, v126
	v_add_f16_e64 v128, v22, v129
	v_fma_f16 v129, 0x388b, v103, v119
	v_mul_f16_e32 v122, 0xbbf1, v122
	v_add_f16_e32 v23, v30, v23
	v_add_f16_e32 v30, v99, v97
	v_add_f16_e64 v157, v171, v157
	v_fma_f16 v171, v102, 0xbbc4, -v181
	v_mul_f16_e64 v188, 0x3a95, v113
	v_fma_f16 v130, 0x394e, v86, v110
	v_add_f16_e64 v128, v129, v128
	v_fma_f16 v129, 0x2fb7, v104, v122
	v_mul_f16_e32 v113, 0xbb7b, v113
	v_add_f16_e32 v23, v31, v23
	v_add_f16_e32 v30, v95, v30
	v_add_f16_e64 v171, v22, v171
	v_fma_f16 v185, v103, 0x3b15, -v183
	v_add_f16_e64 v97, v130, v126
	v_add_f16_e64 v99, v129, v128
	v_fmamk_f16 v126, v105, 0xb5ac, v113
	v_mul_f16_e32 v31, 0xb94e, v116
	v_add_f16_e32 v23, v32, v23
	v_add_f16_e32 v30, v98, v30
	v_mul_f16_e64 v187, 0x3bf1, v100
	v_add_f16_e64 v171, v185, v171
	v_fma_f16 v185, v104, 0xb9fd, -v186
	v_add_f16_e32 v99, v126, v99
	v_fmamk_f16 v32, v106, 0xb9fd, v31
	v_mul_f16_e32 v98, 0xb3a8, v120
	v_add_f16_e32 v23, v33, v23
	v_add_f16_e32 v30, v94, v30
	v_add_f16_e64 v165, v179, v165
	v_fma_f16 v179, 0x2fb7, v111, v187
	v_add_f16_e64 v171, v185, v171
	v_fma_f16 v185, v105, 0x388b, -v188
	v_mul_f16_e64 v189, 0xbb7b, v116
	v_add_f16_e32 v32, v32, v99
	v_fmamk_f16 v33, v107, 0xbbc4, v98
	v_add_f16_e32 v23, v28, v23
	v_add_f16_e32 v28, v96, v30
	v_fmac_f16_e64 v139, 0x2fb7, v102
	v_fmac_f16_e64 v167, 0xb9fd, v102
	;; [unrolled: 1-line block ×3, first 2 shown]
	v_add_f16_e64 v165, v179, v165
	v_add_f16_e64 v171, v185, v171
	v_fma_f16 v179, v106, 0xb5ac, -v189
	v_mul_f16_e64 v185, 0x3bf1, v120
	v_fmac_f16_e64 v181, 0xbbc4, v102
	v_fmac_f16_e32 v117, 0xb770, v87
	v_add_f16_e32 v30, v33, v32
	v_fma_f16 v32, v102, 0x3b15, -v118
	v_add_f16_e32 v23, v29, v23
	v_add_f16_e32 v28, v90, v28
	v_add_f16_e64 v139, v22, v139
	v_fmac_f16_e64 v141, 0xbbc4, v103
	v_add_f16_e64 v167, v22, v167
	v_fmac_f16_e64 v169, 0x2fb7, v103
	;; [unrolled: 2-line block ×3, first 2 shown]
	v_add_f16_e64 v171, v179, v171
	v_fma_f16 v179, v107, 0x2fb7, -v185
	v_add_f16_e64 v180, v22, v181
	v_fmac_f16_e64 v183, 0x3b15, v103
	v_add_f16_e32 v29, v93, v117
	v_fmac_f16_e32 v115, 0xba95, v85
	v_add_f16_e32 v22, v22, v32
	v_fma_f16 v32, v103, 0x388b, -v119
	v_add_f16_e32 v23, v26, v23
	v_add_f16_e32 v26, v92, v28
	v_add_f16_e64 v139, v141, v139
	v_fmac_f16_e64 v144, 0xb5ac, v104
	v_fmac_f16_e64 v131, 0xbbc4, v104
	v_add_f16_e64 v167, v169, v167
	v_fmac_f16_e64 v172, 0x388b, v104
	v_add_f16_e64 v153, v155, v153
	;; [unrolled: 2-line block ×3, first 2 shown]
	v_add_f16_e64 v179, v183, v180
	v_fmac_f16_e64 v186, 0xb9fd, v104
	v_add_f16_e32 v28, v115, v29
	v_fmac_f16_e32 v114, 0xbbf1, v83
	v_add_f16_e32 v22, v32, v22
	v_fma_f16 v29, v104, 0x2fb7, -v122
	v_add_f16_e32 v23, v27, v23
	v_add_f16_e32 v26, v89, v26
	v_add_f16_e64 v139, v144, v139
	v_fmac_f16_e64 v146, 0x3b15, v105
	v_add_f16_e64 v124, v131, v124
	v_fmac_f16_e64 v133, 0xb9fd, v105
	;; [unrolled: 2-line block ×5, first 2 shown]
	v_mul_f16_e32 v95, 0xbbc4, v111
	v_add_f16_e32 v27, v114, v28
	v_fmac_f16_e32 v112, 0xbb7b, v84
	v_add_f16_e32 v22, v29, v22
	v_fma_f16 v28, v105, 0xb5ac, -v113
	v_add_f16_e32 v23, v24, v23
	v_add_f16_e32 v24, v91, v26
	v_add_f16_e64 v127, v146, v139
	v_fmac_f16_e64 v148, 0x388b, v106
	v_add_f16_e64 v124, v133, v124
	v_fmac_f16_e64 v135, 0x2fb7, v106
	;; [unrolled: 2-line block ×5, first 2 shown]
	v_add_f16_e64 v175, v177, v175
	v_fma_f16 v177, v111, 0x2fb7, -v187
	v_add_f16_e64 v161, v163, v161
	v_fma_f16 v163, v111, 0xb5ac, -v173
	;; [unrolled: 2-line block ×4, first 2 shown]
	v_fmamk_f16 v111, v100, 0x33a8, v95
	v_add_f16_e32 v26, v112, v27
	v_fmac_f16_e32 v110, 0xb94e, v86
	v_add_f16_e32 v22, v28, v22
	v_fma_f16 v27, v106, 0xb9fd, -v31
	v_add_f16_e32 v23, v25, v23
	v_add_f16_e32 v24, v88, v24
	v_add_f16_e64 v127, v148, v127
	v_fmac_f16_e64 v150, 0xb9fd, v107
	v_add_f16_e64 v124, v135, v124
	v_fmac_f16_e64 v137, 0x3b15, v107
	;; [unrolled: 2-line block ×5, first 2 shown]
	v_add_f16_e32 v94, v111, v97
	v_add_f16_e32 v25, v110, v26
	v_fmac_f16_e32 v95, 0xb3a8, v100
	v_add_f16_e32 v22, v27, v22
	v_fma_f16 v26, v107, 0xbbc4, -v98
	v_and_b32_e32 v27, 0xffff, v38
	v_add_f16_e32 v23, v39, v23
	v_add_f16_e32 v24, v40, v24
	v_add_f16_e64 v134, v136, v134
	v_add_f16_e64 v127, v150, v127
	;; [unrolled: 1-line block ×9, first 2 shown]
	v_add_f16_e32 v25, v95, v25
	v_add_f16_e32 v22, v26, v22
	v_lshlrev_b32_e32 v26, 2, v27
	v_pack_b32_f16 v27, v30, v94
	v_pack_b32_f16 v23, v23, v24
	v_pack_b32_f16 v24, v127, v134
	v_pack_b32_f16 v28, v124, v125
	v_pack_b32_f16 v29, v152, v161
	v_pack_b32_f16 v30, v138, v147
	v_pack_b32_f16 v31, v171, v165
	v_pack_b32_f16 v32, v166, v175
	v_pack_b32_f16 v33, v143, v123
	v_pack_b32_f16 v38, v157, v151
	v_pack_b32_f16 v39, v108, v101
	v_pack_b32_f16 v40, v121, v109
	v_pack_b32_f16 v22, v22, v25
	ds_store_2addr_b32 v26, v23, v27 offset1:1
	ds_store_2addr_b32 v26, v28, v24 offset0:2 offset1:3
	ds_store_2addr_b32 v26, v30, v29 offset0:4 offset1:5
	;; [unrolled: 1-line block ×5, first 2 shown]
	ds_store_b32 v26, v22 offset:48
.LBB0_13:
	s_wait_alu 0xfffe
	s_or_b32 exec_lo, exec_lo, s0
	v_add_nc_u32_e32 v22, 0x900, v36
	v_add_nc_u32_e32 v23, 0x1200, v36
	global_wb scope:SCOPE_SE
	s_wait_dscnt 0x0
	s_barrier_signal -1
	s_barrier_wait -1
	global_inv scope:SCOPE_SE
	ds_load_2addr_b32 v[27:28], v36 offset1:156
	ds_load_2addr_b32 v[29:30], v22 offset0:48 offset1:204
	ds_load_2addr_b32 v[31:32], v23 offset0:96 offset1:252
	v_add_nc_u32_e32 v24, 0x400, v36
	v_add_nc_u32_e32 v26, 0xe00, v36
	;; [unrolled: 1-line block ×3, first 2 shown]
	ds_load_2addr_b32 v[38:39], v24 offset0:56 offset1:212
	ds_load_2addr_b32 v[83:84], v26 offset0:40 offset1:196
	;; [unrolled: 1-line block ×3, first 2 shown]
	global_wb scope:SCOPE_SE
	s_wait_dscnt 0x0
	s_barrier_signal -1
	s_barrier_wait -1
	global_inv scope:SCOPE_SE
	v_lshrrev_b32_e32 v33, 16, v27
	v_lshrrev_b32_e32 v87, 16, v29
	;; [unrolled: 1-line block ×5, first 2 shown]
	v_mul_f16_e32 v97, v55, v29
	v_mul_f16_e32 v98, v56, v31
	;; [unrolled: 1-line block ×4, first 2 shown]
	v_lshrrev_b32_e32 v92, 16, v83
	v_mul_f16_e32 v99, v57, v30
	v_mul_f16_e32 v57, v57, v89
	v_lshrrev_b32_e32 v93, 16, v85
	v_fma_f16 v87, v20, v87, -v97
	v_fmac_f16_e32 v55, v20, v29
	v_fmac_f16_e32 v56, v21, v31
	v_fma_f16 v20, v21, v88, -v98
	v_mul_f16_e32 v21, v54, v90
	v_mul_f16_e32 v29, v54, v32
	v_lshrrev_b32_e32 v95, 16, v84
	v_fmac_f16_e32 v57, v18, v30
	v_mul_f16_e32 v30, v52, v92
	v_mul_f16_e32 v31, v52, v83
	v_lshrrev_b32_e32 v96, 16, v86
	v_fmac_f16_e32 v21, v19, v32
	v_fma_f16 v19, v19, v90, -v29
	v_mul_f16_e32 v29, v51, v93
	v_mul_f16_e32 v32, v51, v85
	v_fmac_f16_e32 v30, v16, v83
	v_fma_f16 v16, v16, v92, -v31
	v_mul_f16_e32 v31, v50, v95
	v_mul_f16_e32 v50, v50, v84
	;; [unrolled: 4-line block ×3, first 2 shown]
	v_fmac_f16_e32 v31, v14, v84
	v_fma_f16 v14, v14, v95, -v50
	v_add_f16_e32 v50, v55, v56
	v_fmac_f16_e32 v32, v15, v86
	v_fma_f16 v15, v15, v96, -v49
	v_add_f16_e32 v49, v87, v20
	v_add_f16_e32 v51, v27, v55
	v_fma_f16 v27, -0.5, v50, v27
	v_sub_f16_e32 v50, v87, v20
	v_fma_f16 v18, v18, v89, -v99
	v_add_f16_e32 v52, v33, v87
	v_fmac_f16_e32 v33, -0.5, v49
	v_sub_f16_e32 v49, v55, v56
	v_lshrrev_b32_e32 v40, 16, v28
	v_fmamk_f16 v54, v50, 0xbaee, v27
	v_fmac_f16_e32 v27, 0x3aee, v50
	v_add_f16_e32 v50, v57, v21
	v_add_f16_e32 v20, v52, v20
	v_fmamk_f16 v52, v49, 0x3aee, v33
	v_add_f16_e32 v55, v28, v57
	v_fmac_f16_e32 v33, 0xbaee, v49
	v_add_f16_e32 v49, v18, v19
	v_fmac_f16_e32 v28, -0.5, v50
	v_sub_f16_e32 v50, v18, v19
	v_add_f16_e32 v18, v40, v18
	v_add_f16_e32 v55, v55, v21
	v_fmac_f16_e32 v40, -0.5, v49
	v_sub_f16_e32 v21, v57, v21
	v_lshrrev_b32_e32 v91, 16, v38
	v_add_f16_e32 v18, v18, v19
	v_add_f16_e32 v19, v30, v29
	v_fmamk_f16 v49, v50, 0xbaee, v28
	v_fmac_f16_e32 v28, 0x3aee, v50
	v_fmamk_f16 v50, v21, 0x3aee, v40
	v_fmac_f16_e32 v40, 0xbaee, v21
	v_add_f16_e32 v21, v16, v17
	v_add_f16_e32 v51, v51, v56
	v_add_f16_e32 v56, v38, v30
	v_fma_f16 v19, -0.5, v19, v38
	v_sub_f16_e32 v38, v16, v17
	v_add_f16_e32 v16, v91, v16
	v_fmac_f16_e32 v91, -0.5, v21
	v_sub_f16_e32 v21, v30, v29
	v_lshrrev_b32_e32 v94, 16, v39
	v_add_f16_e32 v56, v56, v29
	v_add_f16_e32 v16, v16, v17
	;; [unrolled: 1-line block ×3, first 2 shown]
	v_fmamk_f16 v30, v21, 0x3aee, v91
	v_fmac_f16_e32 v91, 0xbaee, v21
	v_add_f16_e32 v21, v14, v15
	v_fmamk_f16 v29, v38, 0xbaee, v19
	v_fmac_f16_e32 v19, 0x3aee, v38
	v_add_f16_e32 v38, v39, v31
	v_fmac_f16_e32 v39, -0.5, v17
	v_sub_f16_e32 v17, v14, v15
	v_add_f16_e32 v14, v94, v14
	v_fmac_f16_e32 v94, -0.5, v21
	v_sub_f16_e32 v21, v31, v32
	v_add_f16_e32 v31, v38, v32
	v_fmamk_f16 v32, v17, 0xbaee, v39
	v_fmac_f16_e32 v39, 0x3aee, v17
	v_pack_b32_f16 v17, v51, v20
	v_pack_b32_f16 v20, v54, v52
	v_add_f16_e32 v14, v14, v15
	v_fmamk_f16 v15, v21, 0x3aee, v94
	v_fmac_f16_e32 v94, 0xbaee, v21
	v_pack_b32_f16 v21, v27, v33
	v_pack_b32_f16 v18, v55, v18
	;; [unrolled: 1-line block ×3, first 2 shown]
	ds_store_2addr_b32 v41, v17, v20 offset1:13
	ds_store_b32 v41, v21 offset:104
	ds_store_2addr_b32 v42, v18, v27 offset1:13
	v_pack_b32_f16 v17, v28, v40
	v_pack_b32_f16 v16, v56, v16
	;; [unrolled: 1-line block ×7, first 2 shown]
	ds_store_b32 v42, v17 offset:104
	ds_store_2addr_b32 v43, v16, v18 offset1:13
	ds_store_b32 v43, v19 offset:104
	ds_store_2addr_b32 v44, v14, v15 offset1:13
	ds_store_b32 v44, v20 offset:104
	global_wb scope:SCOPE_SE
	s_wait_dscnt 0x0
	s_barrier_signal -1
	s_barrier_wait -1
	global_inv scope:SCOPE_SE
	ds_load_2addr_b32 v[14:15], v36 offset1:156
	ds_load_2addr_b32 v[16:17], v24 offset0:56 offset1:212
	ds_load_2addr_b32 v[18:19], v26 offset0:40 offset1:196
	ds_load_2addr_b32 v[20:21], v23 offset0:96 offset1:252
	ds_load_2addr_b32 v[27:28], v22 offset0:48 offset1:204
	ds_load_2addr_b32 v[29:30], v25 offset0:24 offset1:180
	global_wb scope:SCOPE_SE
	s_wait_dscnt 0x0
	s_barrier_signal -1
	s_barrier_wait -1
	global_inv scope:SCOPE_SE
	v_lshrrev_b32_e32 v31, 16, v14
	v_lshrrev_b32_e32 v32, 16, v17
	v_lshrrev_b32_e32 v33, 16, v18
	v_lshrrev_b32_e32 v38, 16, v21
	v_lshrrev_b32_e32 v40, 16, v27
	v_lshrrev_b32_e32 v41, 16, v19
	v_mul_f16_e32 v43, v65, v32
	v_lshrrev_b32_e32 v42, 16, v29
	v_mul_f16_e32 v52, v64, v33
	v_mul_f16_e32 v54, v64, v18
	;; [unrolled: 1-line block ×3, first 2 shown]
	v_fmac_f16_e32 v43, v10, v17
	v_mul_f16_e32 v17, v65, v17
	v_lshrrev_b32_e32 v49, 16, v28
	v_lshrrev_b32_e32 v50, 16, v20
	v_mul_f16_e32 v56, v63, v21
	v_fmac_f16_e32 v52, v11, v18
	v_fma_f16 v10, v10, v32, -v17
	v_fma_f16 v11, v11, v33, -v54
	v_fmac_f16_e32 v55, v12, v21
	v_mul_f16_e32 v17, v62, v40
	v_mul_f16_e32 v18, v62, v27
	;; [unrolled: 1-line block ×5, first 2 shown]
	v_lshrrev_b32_e32 v51, 16, v30
	v_fmac_f16_e32 v17, v7, v27
	v_fma_f16 v7, v7, v40, -v18
	v_fmac_f16_e32 v21, v8, v19
	v_fma_f16 v8, v8, v41, -v32
	v_fmac_f16_e32 v33, v9, v29
	v_mul_f16_e32 v18, v60, v29
	v_mul_f16_e32 v19, v59, v49
	;; [unrolled: 1-line block ×5, first 2 shown]
	v_fma_f16 v12, v12, v38, -v56
	v_fmac_f16_e32 v19, v4, v28
	v_fma_f16 v4, v4, v49, -v27
	v_fmac_f16_e32 v29, v5, v20
	v_fma_f16 v5, v5, v50, -v32
	v_mul_f16_e32 v27, v53, v51
	v_mul_f16_e32 v32, v53, v30
	v_fma_f16 v9, v9, v42, -v18
	v_sub_f16_e32 v18, v14, v52
	v_sub_f16_e32 v20, v43, v55
	;; [unrolled: 1-line block ×4, first 2 shown]
	v_lshrrev_b32_e32 v39, 16, v15
	v_lshrrev_b32_e32 v44, 16, v16
	v_fmac_f16_e32 v27, v6, v30
	v_fma_f16 v6, v6, v51, -v32
	v_fma_f16 v14, v14, 2.0, -v18
	v_fma_f16 v28, v43, 2.0, -v20
	;; [unrolled: 1-line block ×4, first 2 shown]
	v_sub_f16_e32 v21, v15, v21
	v_sub_f16_e32 v30, v17, v33
	;; [unrolled: 1-line block ×10, first 2 shown]
	v_add_f16_e32 v12, v18, v12
	v_sub_f16_e32 v20, v11, v20
	v_fma_f16 v15, v15, 2.0, -v21
	v_fma_f16 v17, v17, 2.0, -v30
	;; [unrolled: 1-line block ×12, first 2 shown]
	v_sub_f16_e32 v17, v15, v17
	v_sub_f16_e32 v7, v32, v7
	v_add_f16_e32 v9, v21, v9
	v_sub_f16_e32 v30, v8, v30
	v_sub_f16_e32 v19, v16, v19
	;; [unrolled: 1-line block ×3, first 2 shown]
	v_add_f16_e32 v6, v29, v6
	v_sub_f16_e32 v27, v5, v27
	v_pack_b32_f16 v14, v14, v31
	v_pack_b32_f16 v11, v18, v11
	v_fma_f16 v15, v15, 2.0, -v17
	v_fma_f16 v32, v32, 2.0, -v7
	;; [unrolled: 1-line block ×8, first 2 shown]
	ds_store_2addr_b32 v47, v14, v11 offset1:39
	v_pack_b32_f16 v10, v28, v10
	v_pack_b32_f16 v11, v12, v20
	;; [unrolled: 1-line block ×10, first 2 shown]
	ds_store_2addr_b32 v47, v10, v11 offset0:78 offset1:117
	ds_store_2addr_b32 v46, v12, v8 offset1:39
	ds_store_2addr_b32 v46, v7, v9 offset0:78 offset1:117
	ds_store_2addr_b32 v45, v14, v5 offset1:39
	ds_store_2addr_b32 v45, v4, v6 offset0:78 offset1:117
	global_wb scope:SCOPE_SE
	s_wait_dscnt 0x0
	s_barrier_signal -1
	s_barrier_wait -1
	global_inv scope:SCOPE_SE
	ds_load_2addr_b32 v[4:5], v36 offset1:156
	ds_load_2addr_b32 v[6:7], v24 offset0:56 offset1:212
	ds_load_2addr_b32 v[8:9], v22 offset0:48 offset1:204
	;; [unrolled: 1-line block ×5, first 2 shown]
	global_wb scope:SCOPE_SE
	s_wait_dscnt 0x0
	s_barrier_signal -1
	s_barrier_wait -1
	global_inv scope:SCOPE_SE
	v_lshrrev_b32_e32 v12, 16, v4
	v_lshrrev_b32_e32 v18, 16, v6
	;; [unrolled: 1-line block ×4, first 2 shown]
	v_mul_f16_e32 v38, v76, v6
	v_lshrrev_b32_e32 v21, 16, v14
	v_mul_f16_e32 v32, v76, v18
	v_mul_f16_e32 v40, v75, v19
	v_lshrrev_b32_e32 v27, 16, v16
	v_fma_f16 v18, v0, v18, -v38
	v_mul_f16_e32 v38, v74, v20
	v_fmac_f16_e32 v32, v0, v6
	v_mul_f16_e32 v6, v75, v8
	v_fmac_f16_e32 v40, v1, v8
	v_mul_f16_e32 v8, v74, v10
	v_lshrrev_b32_e32 v29, 16, v7
	v_fmac_f16_e32 v38, v2, v10
	v_fma_f16 v6, v1, v19, -v6
	v_mul_f16_e32 v19, v73, v21
	v_mul_f16_e32 v10, v73, v14
	v_fma_f16 v8, v2, v20, -v8
	v_mul_f16_e32 v20, v72, v27
	v_lshrrev_b32_e32 v30, 16, v9
	v_lshrrev_b32_e32 v31, 16, v11
	v_fmac_f16_e32 v19, v3, v14
	v_mul_f16_e32 v14, v72, v16
	v_fma_f16 v10, v3, v21, -v10
	v_mul_f16_e32 v21, v76, v29
	v_fmac_f16_e32 v20, v48, v16
	v_mul_f16_e32 v16, v76, v7
	v_lshrrev_b32_e32 v33, 16, v15
	v_fma_f16 v14, v48, v27, -v14
	v_mul_f16_e32 v27, v75, v30
	v_fmac_f16_e32 v21, v0, v7
	v_mul_f16_e32 v7, v75, v9
	v_fma_f16 v0, v0, v29, -v16
	v_mul_f16_e32 v16, v74, v31
	v_lshrrev_b32_e32 v39, 16, v17
	v_fmac_f16_e32 v27, v1, v9
	v_mul_f16_e32 v9, v74, v11
	v_fma_f16 v1, v1, v30, -v7
	v_mul_f16_e32 v7, v73, v33
	v_fmac_f16_e32 v16, v2, v11
	v_mul_f16_e32 v11, v73, v15
	v_fma_f16 v2, v2, v31, -v9
	v_mul_f16_e32 v9, v72, v39
	v_fmac_f16_e32 v7, v3, v15
	v_mul_f16_e32 v15, v72, v17
	v_fma_f16 v3, v3, v33, -v11
	v_add_f16_e32 v11, v40, v19
	v_fmac_f16_e32 v9, v48, v17
	v_add_f16_e32 v17, v4, v40
	v_add_f16_e32 v29, v6, v10
	;; [unrolled: 1-line block ×3, first 2 shown]
	v_fma_f16 v4, -0.5, v11, v4
	v_sub_f16_e32 v11, v6, v10
	v_add_f16_e32 v6, v12, v6
	v_fmac_f16_e32 v12, -0.5, v29
	v_add_f16_e32 v17, v17, v19
	v_sub_f16_e32 v19, v40, v19
	v_fmamk_f16 v29, v11, 0xbaee, v4
	v_fmac_f16_e32 v4, 0x3aee, v11
	v_add_f16_e32 v11, v8, v14
	v_add_f16_e32 v31, v18, v8
	;; [unrolled: 1-line block ×3, first 2 shown]
	v_fmamk_f16 v10, v19, 0x3aee, v12
	v_add_f16_e32 v33, v32, v38
	v_fmac_f16_e32 v18, -0.5, v11
	v_sub_f16_e32 v11, v38, v20
	v_fmac_f16_e32 v32, -0.5, v30
	v_sub_f16_e32 v8, v8, v14
	v_fmac_f16_e32 v12, 0xbaee, v19
	v_add_f16_e32 v14, v31, v14
	v_fmamk_f16 v19, v11, 0x3aee, v18
	v_fmac_f16_e32 v18, 0xbaee, v11
	v_add_f16_e32 v11, v33, v20
	v_fmamk_f16 v20, v8, 0xbaee, v32
	v_fmac_f16_e32 v32, 0x3aee, v8
	v_add_f16_e32 v33, v6, v14
	v_mul_f16_e32 v30, 0xbaee, v18
	v_mul_f16_e32 v18, -0.5, v18
	v_sub_f16_e32 v6, v6, v14
	v_add_f16_e32 v14, v27, v7
	v_lshrrev_b32_e32 v28, 16, v5
	v_fma_f16 v15, v48, v39, -v15
	v_fmac_f16_e32 v18, 0x3aee, v32
	v_mul_f16_e32 v8, 0xbaee, v19
	v_mul_f16_e32 v19, 0.5, v19
	v_add_f16_e32 v31, v17, v11
	v_sub_f16_e32 v11, v17, v11
	v_add_f16_e32 v39, v12, v18
	v_add_f16_e32 v17, v5, v27
	v_sub_f16_e32 v12, v12, v18
	v_add_f16_e32 v18, v1, v3
	v_fmac_f16_e32 v5, -0.5, v14
	v_sub_f16_e32 v14, v1, v3
	v_fmac_f16_e32 v19, 0x3aee, v20
	v_add_f16_e32 v1, v28, v1
	v_fmac_f16_e32 v28, -0.5, v18
	v_add_f16_e32 v17, v17, v7
	v_fmamk_f16 v18, v14, 0xbaee, v5
	v_fmac_f16_e32 v5, 0x3aee, v14
	v_add_f16_e32 v14, v2, v15
	v_add_f16_e32 v38, v10, v19
	v_sub_f16_e32 v10, v10, v19
	v_sub_f16_e32 v7, v27, v7
	v_add_f16_e32 v19, v16, v9
	v_add_f16_e32 v27, v0, v2
	v_fmac_f16_e32 v0, -0.5, v14
	v_sub_f16_e32 v14, v16, v9
	v_add_f16_e32 v1, v1, v3
	v_fmamk_f16 v3, v7, 0x3aee, v28
	v_add_f16_e32 v16, v21, v16
	v_fmac_f16_e32 v21, -0.5, v19
	v_sub_f16_e32 v2, v2, v15
	v_fmac_f16_e32 v28, 0xbaee, v7
	v_fmamk_f16 v7, v14, 0x3aee, v0
	v_fmac_f16_e32 v0, 0xbaee, v14
	v_fmac_f16_e32 v8, 0.5, v20
	v_fmamk_f16 v14, v2, 0xbaee, v21
	v_fmac_f16_e32 v21, 0x3aee, v2
	v_mul_f16_e32 v2, 0xbaee, v7
	v_mul_f16_e32 v7, 0.5, v7
	v_add_f16_e32 v9, v16, v9
	v_mul_f16_e32 v16, 0xbaee, v0
	v_mul_f16_e32 v0, -0.5, v0
	v_fmac_f16_e32 v30, -0.5, v32
	v_add_f16_e32 v20, v29, v8
	v_add_f16_e32 v15, v27, v15
	v_fmac_f16_e32 v7, 0x3aee, v14
	v_fmac_f16_e32 v2, 0.5, v14
	v_fmac_f16_e32 v16, -0.5, v21
	v_fmac_f16_e32 v0, 0x3aee, v21
	v_add_f16_e32 v32, v4, v30
	v_sub_f16_e32 v8, v29, v8
	v_add_f16_e32 v27, v1, v15
	v_add_f16_e32 v29, v3, v7
	v_sub_f16_e32 v1, v1, v15
	v_sub_f16_e32 v3, v3, v7
	v_pack_b32_f16 v7, v31, v33
	v_pack_b32_f16 v15, v20, v38
	v_sub_f16_e32 v4, v4, v30
	v_add_f16_e32 v19, v17, v9
	v_add_f16_e32 v14, v18, v2
	v_add_f16_e32 v21, v5, v16
	v_add_f16_e32 v30, v28, v0
	v_sub_f16_e32 v9, v17, v9
	v_sub_f16_e32 v2, v18, v2
	;; [unrolled: 1-line block ×4, first 2 shown]
	ds_store_2addr_b32 v36, v7, v15 offset1:156
	v_pack_b32_f16 v7, v32, v39
	v_pack_b32_f16 v6, v11, v6
	;; [unrolled: 1-line block ×10, first 2 shown]
	ds_store_2addr_b32 v24, v7, v6 offset0:56 offset1:212
	ds_store_2addr_b32 v22, v8, v4 offset0:48 offset1:204
	ds_store_2addr_b32 v26, v10, v11 offset0:40 offset1:196
	ds_store_2addr_b32 v23, v12, v1 offset0:96 offset1:252
	ds_store_2addr_b32 v25, v2, v0 offset0:24 offset1:180
	global_wb scope:SCOPE_SE
	s_wait_dscnt 0x0
	s_barrier_signal -1
	s_barrier_wait -1
	global_inv scope:SCOPE_SE
	ds_load_2addr_b32 v[0:1], v36 offset1:156
	ds_load_2addr_b32 v[2:3], v26 offset0:40 offset1:196
	ds_load_2addr_b32 v[4:5], v24 offset0:56 offset1:212
	;; [unrolled: 1-line block ×5, first 2 shown]
	s_wait_dscnt 0x5
	v_lshrrev_b32_e32 v12, 16, v0
	s_wait_dscnt 0x4
	v_lshrrev_b32_e32 v14, 16, v2
	v_lshrrev_b32_e32 v16, 16, v3
	s_wait_dscnt 0x2
	v_lshrrev_b32_e32 v18, 16, v6
	v_mul_f16_e32 v31, v82, v2
	v_lshrrev_b32_e32 v20, 16, v7
	v_mul_f16_e32 v27, v82, v14
	v_mul_f16_e32 v32, v81, v3
	;; [unrolled: 1-line block ×3, first 2 shown]
	v_fma_f16 v14, v66, v14, -v31
	v_mul_f16_e32 v31, v80, v6
	v_fmac_f16_e32 v27, v66, v2
	v_mul_f16_e32 v2, v81, v16
	s_wait_dscnt 0x0
	v_lshrrev_b32_e32 v30, 16, v11
	v_fmac_f16_e32 v33, v70, v6
	v_mul_f16_e32 v6, v79, v20
	v_lshrrev_b32_e32 v28, 16, v10
	v_fmac_f16_e32 v2, v69, v3
	v_fma_f16 v3, v69, v16, -v32
	v_fma_f16 v16, v70, v18, -v31
	v_mul_f16_e32 v18, v79, v7
	v_lshrrev_b32_e32 v15, 16, v1
	v_fmac_f16_e32 v6, v67, v7
	v_mul_f16_e32 v7, v77, v30
	v_mul_f16_e32 v31, v78, v28
	;; [unrolled: 1-line block ×3, first 2 shown]
	v_fma_f16 v18, v67, v20, -v18
	v_mul_f16_e32 v20, v77, v11
	v_fmac_f16_e32 v7, v68, v11
	v_sub_f16_e32 v11, v0, v27
	v_sub_f16_e32 v14, v12, v14
	;; [unrolled: 1-line block ×4, first 2 shown]
	v_lshrrev_b32_e32 v17, 16, v4
	v_lshrrev_b32_e32 v19, 16, v5
	;; [unrolled: 1-line block ×4, first 2 shown]
	v_fmac_f16_e32 v31, v71, v10
	v_fma_f16 v10, v71, v28, -v32
	v_fma_f16 v20, v68, v30, -v20
	v_fma_f16 v0, v0, 2.0, -v11
	v_fma_f16 v12, v12, 2.0, -v14
	;; [unrolled: 1-line block ×4, first 2 shown]
	v_sub_f16_e32 v27, v4, v33
	v_sub_f16_e32 v16, v17, v16
	;; [unrolled: 1-line block ×8, first 2 shown]
	v_pack_b32_f16 v0, v0, v12
	v_pack_b32_f16 v1, v1, v15
	v_fma_f16 v4, v4, 2.0, -v27
	v_fma_f16 v17, v17, 2.0, -v16
	;; [unrolled: 1-line block ×8, first 2 shown]
	v_pack_b32_f16 v11, v11, v14
	ds_store_2addr_b32 v36, v0, v1 offset1:156
	v_pack_b32_f16 v0, v2, v3
	v_pack_b32_f16 v1, v4, v17
	;; [unrolled: 1-line block ×9, first 2 shown]
	ds_store_2addr_b32 v26, v11, v0 offset0:40 offset1:196
	ds_store_2addr_b32 v24, v1, v3 offset0:56 offset1:212
	;; [unrolled: 1-line block ×5, first 2 shown]
	global_wb scope:SCOPE_SE
	s_wait_dscnt 0x0
	s_barrier_signal -1
	s_barrier_wait -1
	global_inv scope:SCOPE_SE
	s_and_b32 exec_lo, exec_lo, vcc_lo
	s_cbranch_execz .LBB0_15
; %bb.14:
	s_clause 0x6
	global_load_b32 v0, v34, s[20:21]
	global_load_b32 v1, v34, s[20:21] offset:576
	global_load_b32 v7, v34, s[20:21] offset:1152
	;; [unrolled: 1-line block ×6, first 2 shown]
	v_add_nc_u32_e32 v4, 0x200, v37
	v_add_nc_u32_e32 v10, 0x600, v37
	;; [unrolled: 1-line block ×3, first 2 shown]
	ds_load_b32 v18, v36
	ds_load_2addr_b32 v[5:6], v4 offset0:16 offset1:160
	ds_load_2addr_b32 v[10:11], v10 offset0:48 offset1:192
	;; [unrolled: 1-line block ×3, first 2 shown]
	v_mad_co_u64_u32 v[8:9], null, s4, v35, 0
	v_mad_co_u64_u32 v[2:3], null, s6, v13, 0
	s_mov_b32 s24, 0x11811812
	s_mov_b32 s25, 0x3f418118
	s_mul_u64 s[22:23], s[4:5], 0x240
	s_delay_alu instid0(VALU_DEP_2) | instskip(NEXT) | instid1(VALU_DEP_1)
	v_mov_b32_e32 v4, v9
	v_mad_co_u64_u32 v[12:13], null, s7, v13, v[3:4]
	s_wait_dscnt 0x3
	v_lshrrev_b32_e32 v13, 16, v18
	s_wait_dscnt 0x2
	v_mad_co_u64_u32 v[16:17], null, s5, v35, v[4:5]
	v_lshrrev_b32_e32 v19, 16, v6
	s_delay_alu instid0(VALU_DEP_4)
	v_mov_b32_e32 v3, v12
	v_lshrrev_b32_e32 v12, 16, v5
	s_wait_dscnt 0x1
	v_lshrrev_b32_e32 v25, 16, v10
	v_lshrrev_b32_e32 v26, 16, v11
	s_wait_dscnt 0x0
	v_lshrrev_b32_e32 v27, 16, v14
	v_mov_b32_e32 v9, v16
	v_lshrrev_b32_e32 v45, 16, v15
	v_lshlrev_b64_e32 v[2:3], 2, v[2:3]
	global_load_b32 v4, v34, s[20:21] offset:4032
	v_add_co_u32 v2, vcc_lo, s8, v2
	v_add_co_ci_u32_e32 v3, vcc_lo, s9, v3, vcc_lo
	s_wait_loadcnt 0x7
	v_lshrrev_b32_e32 v16, 16, v0
	s_wait_loadcnt 0x6
	v_lshrrev_b32_e32 v17, 16, v1
	;; [unrolled: 2-line block ×5, first 2 shown]
	v_mul_f16_e32 v30, v13, v16
	v_mul_f16_e32 v16, v18, v16
	;; [unrolled: 1-line block ×5, first 2 shown]
	v_fmac_f16_e32 v30, v18, v0
	v_fma_f16 v0, v0, v13, -v16
	v_mul_f16_e32 v18, v19, v20
	v_fmac_f16_e32 v31, v5, v1
	v_fma_f16 v12, v1, v12, -v17
	v_cvt_f32_f16_e32 v13, v30
	v_cvt_f32_f16_e32 v16, v0
	v_mul_f16_e32 v20, v6, v20
	v_cvt_f32_f16_e32 v17, v31
	v_fmac_f16_e32 v18, v6, v7
	v_cvt_f64_f32_e32 v[0:1], v13
	v_cvt_f32_f16_e32 v6, v12
	v_cvt_f64_f32_e32 v[12:13], v16
	v_cvt_f64_f32_e32 v[16:17], v17
	v_fma_f16 v7, v7, v19, -v20
	v_cvt_f32_f16_e32 v20, v18
	v_cvt_f64_f32_e32 v[18:19], v6
	s_wait_loadcnt 0x2
	v_lshrrev_b32_e32 v29, 16, v24
	v_mul_f16_e32 v5, v10, v21
	v_mul_f16_e32 v30, v26, v28
	v_fmac_f16_e32 v32, v10, v22
	v_cvt_f32_f16_e32 v7, v7
	v_cvt_f64_f32_e32 v[20:21], v20
	v_mul_f16_e32 v6, v14, v29
	v_mul_f16_e32 v28, v11, v28
	v_cvt_f32_f16_e32 v32, v32
	v_fma_f16 v5, v22, v25, -v5
	v_fmac_f16_e32 v30, v11, v23
	v_cvt_f64_f32_e32 v[10:11], v7
	v_fma_f16 v6, v24, v27, -v6
	s_wait_loadcnt 0x1
	v_lshrrev_b32_e32 v46, 16, v44
	v_mul_f16_e32 v31, v27, v29
	v_fma_f16 v26, v23, v26, -v28
	v_cvt_f64_f32_e32 v[22:23], v32
	v_cvt_f32_f16_e32 v5, v5
	v_cvt_f32_f16_e32 v6, v6
	v_mul_f16_e32 v29, v45, v46
	v_fmac_f16_e32 v31, v14, v24
	v_cvt_f32_f16_e32 v7, v30
	v_cvt_f64_f32_e32 v[24:25], v5
	v_cvt_f64_f32_e32 v[32:33], v6
	v_fmac_f16_e32 v29, v15, v44
	v_cvt_f32_f16_e32 v5, v26
	v_cvt_f64_f32_e32 v[26:27], v7
	v_cvt_f32_f16_e32 v14, v31
	s_delay_alu instid0(VALU_DEP_4) | instskip(NEXT) | instid1(VALU_DEP_4)
	v_cvt_f32_f16_e32 v35, v29
	v_cvt_f64_f32_e32 v[28:29], v5
	v_mul_f64_e32 v[38:39], s[24:25], v[0:1]
	v_lshlrev_b64_e32 v[0:1], 2, v[8:9]
	v_mul_f64_e32 v[8:9], s[24:25], v[12:13]
	v_mul_f64_e32 v[12:13], s[24:25], v[16:17]
	v_cvt_f64_f32_e32 v[30:31], v14
	v_cvt_f64_f32_e32 v[35:36], v35
	v_mul_f64_e32 v[16:17], s[24:25], v[18:19]
	v_add_co_u32 v18, vcc_lo, v2, v0
	s_wait_alu 0xfffd
	v_add_co_ci_u32_e32 v19, vcc_lo, v3, v1, vcc_lo
	v_mul_f16_e32 v0, v15, v46
	v_mul_f64_e32 v[20:21], s[24:25], v[20:21]
	v_add_co_u32 v40, vcc_lo, v18, s22
	s_wait_alu 0xfffd
	v_add_co_ci_u32_e32 v41, vcc_lo, s23, v19, vcc_lo
	v_fma_f16 v44, v44, v45, -v0
	v_mul_f64_e32 v[10:11], s[24:25], v[10:11]
	v_add_co_u32 v42, vcc_lo, v40, s22
	s_wait_alu 0xfffd
	v_add_co_ci_u32_e32 v43, vcc_lo, s23, v41, vcc_lo
	v_mul_f64_e32 v[22:23], s[24:25], v[22:23]
	s_clause 0x2
	global_load_b32 v5, v34, s[20:21] offset:4608
	global_load_b32 v6, v34, s[20:21] offset:5184
	global_load_b32 v7, v34, s[20:21] offset:5760
	v_mul_f64_e32 v[14:15], s[24:25], v[24:25]
	v_mul_f64_e32 v[2:3], s[24:25], v[32:33]
	v_add_co_u32 v24, vcc_lo, v42, s22
	v_mul_f64_e32 v[26:27], s[24:25], v[26:27]
	s_wait_alu 0xfffd
	v_add_co_ci_u32_e32 v25, vcc_lo, s23, v43, vcc_lo
	v_mul_f64_e32 v[28:29], s[24:25], v[28:29]
	v_and_or_b32 v32, 0x1ff, v39, v38
	v_lshrrev_b32_e32 v33, 8, v39
	v_and_or_b32 v8, 0x1ff, v9, v8
	v_and_or_b32 v12, 0x1ff, v13, v12
	v_mul_f64_e32 v[30:31], s[24:25], v[30:31]
	v_cmp_ne_u32_e32 vcc_lo, 0, v32
	v_and_or_b32 v16, 0x1ff, v17, v16
	v_mul_f64_e32 v[0:1], s[24:25], v[35:36]
	v_bfe_u32 v35, v39, 20, 11
	v_lshrrev_b32_e32 v36, 16, v39
	s_wait_alu 0xfffd
	v_cndmask_b32_e64 v32, 0, 1, vcc_lo
	v_cmp_ne_u32_e32 vcc_lo, 0, v8
	v_and_or_b32 v20, 0x1ff, v21, v20
	v_lshrrev_b32_e32 v38, 8, v9
	v_bfe_u32 v39, v9, 20, 11
	v_and_or_b32 v32, 0xffe, v33, v32
	s_wait_alu 0xfffd
	v_cndmask_b32_e64 v8, 0, 1, vcc_lo
	v_cmp_ne_u32_e32 vcc_lo, 0, v12
	v_and_or_b32 v10, 0x1ff, v11, v10
	v_lshrrev_b32_e32 v45, 8, v13
	v_bfe_u32 v46, v13, 20, 11
	v_bfe_u32 v48, v17, 20, 11
	s_wait_alu 0xfffd
	v_cndmask_b32_e64 v12, 0, 1, vcc_lo
	v_cmp_ne_u32_e32 vcc_lo, 0, v16
	v_and_or_b32 v22, 0x1ff, v23, v22
	v_sub_nc_u32_e32 v63, 0x3f1, v35
	v_add_nc_u32_e32 v35, 0xfffffc10, v35
	v_sub_nc_u32_e32 v64, 0x3f1, v39
	s_wait_alu 0xfffd
	v_cndmask_b32_e64 v16, 0, 1, vcc_lo
	v_cmp_ne_u32_e32 vcc_lo, 0, v20
	v_and_or_b32 v14, 0x1ff, v15, v14
	v_and_or_b32 v8, 0xffe, v38, v8
	v_lshrrev_b32_e32 v47, 8, v17
	v_and_or_b32 v26, 0x1ff, v27, v26
	s_wait_alu 0xfffd
	v_cndmask_b32_e64 v20, 0, 1, vcc_lo
	v_cmp_ne_u32_e32 vcc_lo, 0, v10
	v_bfe_u32 v50, v21, 20, 11
	v_and_or_b32 v28, 0x1ff, v29, v28
	v_bfe_u32 v52, v11, 20, 11
	v_add_nc_u32_e32 v39, 0xfffffc10, v39
	s_wait_alu 0xfffd
	v_cndmask_b32_e64 v10, 0, 1, vcc_lo
	v_cmp_ne_u32_e32 vcc_lo, 0, v22
	v_and_or_b32 v30, 0x1ff, v31, v30
	v_sub_nc_u32_e32 v65, 0x3f1, v46
	v_sub_nc_u32_e32 v66, 0x3f1, v48
	v_med3_i32 v33, v63, 0, 13
	s_wait_alu 0xfffd
	v_cndmask_b32_e64 v22, 0, 1, vcc_lo
	v_cmp_ne_u32_e32 vcc_lo, 0, v14
	v_med3_i32 v38, v64, 0, 13
	v_and_or_b32 v12, 0xffe, v45, v12
	v_or_b32_e32 v63, 0x1000, v32
	v_lshl_or_b32 v64, v35, 12, v32
	s_wait_alu 0xfffd
	v_cndmask_b32_e64 v14, 0, 1, vcc_lo
	v_cmp_ne_u32_e32 vcc_lo, 0, v26
	v_lshrrev_b32_e32 v49, 8, v21
	v_lshrrev_b32_e32 v51, 8, v11
	v_bfe_u32 v54, v23, 20, 11
	v_bfe_u32 v56, v15, 20, 11
	s_wait_alu 0xfffd
	v_cndmask_b32_e64 v26, 0, 1, vcc_lo
	v_cmp_ne_u32_e32 vcc_lo, 0, v28
	v_add_nc_u32_e32 v46, 0xfffffc10, v46
	v_sub_nc_u32_e32 v67, 0x3f1, v50
	v_sub_nc_u32_e32 v68, 0x3f1, v52
	v_med3_i32 v45, v65, 0, 13
	s_wait_alu 0xfffd
	v_cndmask_b32_e64 v28, 0, 1, vcc_lo
	v_cmp_ne_u32_e32 vcc_lo, 0, v30
	v_and_or_b32 v16, 0xffe, v47, v16
	v_med3_i32 v47, v66, 0, 13
	v_or_b32_e32 v65, 0x1000, v8
	v_lshl_or_b32 v66, v39, 12, v8
	s_wait_alu 0xfffd
	v_cndmask_b32_e64 v30, 0, 1, vcc_lo
	v_cmp_ne_u32_e32 vcc_lo, 0, v32
	v_lshrrev_b32_e32 v53, 8, v23
	v_lshrrev_b32_e32 v55, 8, v15
	v_bfe_u32 v58, v27, 20, 11
	v_bfe_u32 v60, v29, 20, 11
	s_wait_alu 0xfffd
	v_cndmask_b32_e64 v32, 0, 1, vcc_lo
	v_cmp_ne_u32_e32 vcc_lo, 0, v8
	v_sub_nc_u32_e32 v69, 0x3f1, v54
	v_sub_nc_u32_e32 v70, 0x3f1, v56
	v_and_or_b32 v20, 0xffe, v49, v20
	v_med3_i32 v49, v67, 0, 13
	s_wait_alu 0xfffd
	v_cndmask_b32_e64 v8, 0, 1, vcc_lo
	v_cmp_ne_u32_e32 vcc_lo, 0, v12
	v_and_or_b32 v10, 0xffe, v51, v10
	v_med3_i32 v51, v68, 0, 13
	v_or_b32_e32 v67, 0x1000, v12
	v_lshl_or_b32 v68, v46, 12, v12
	v_add_nc_u32_e32 v48, 0xfffffc10, v48
	s_wait_alu 0xfffd
	v_cndmask_b32_e64 v12, 0, 1, vcc_lo
	v_cmp_ne_u32_e32 vcc_lo, 0, v16
	v_lshrrev_b32_e32 v57, 8, v27
	v_lshrrev_b32_e32 v59, 8, v29
	v_bfe_u32 v62, v31, 20, 11
	v_add_nc_u32_e32 v50, 0xfffffc10, v50
	v_sub_nc_u32_e32 v71, 0x3f1, v58
	v_sub_nc_u32_e32 v72, 0x3f1, v60
	v_and_or_b32 v22, 0xffe, v53, v22
	v_med3_i32 v53, v69, 0, 13
	v_and_or_b32 v14, 0xffe, v55, v14
	v_med3_i32 v55, v70, 0, 13
	v_or_b32_e32 v69, 0x1000, v16
	v_lshl_or_b32 v70, v48, 12, v16
	s_wait_alu 0xfffd
	v_cndmask_b32_e64 v16, 0, 1, vcc_lo
	v_cmp_ne_u32_e32 vcc_lo, 0, v20
	v_lshrrev_b32_e32 v61, 8, v31
	v_add_nc_u32_e32 v52, 0xfffffc10, v52
	v_sub_nc_u32_e32 v73, 0x3f1, v62
	v_and_or_b32 v26, 0xffe, v57, v26
	v_med3_i32 v57, v71, 0, 13
	v_and_or_b32 v28, 0xffe, v59, v28
	v_med3_i32 v59, v72, 0, 13
	v_or_b32_e32 v71, 0x1000, v20
	v_lshl_or_b32 v72, v50, 12, v20
	s_wait_alu 0xfffd
	v_cndmask_b32_e64 v20, 0, 1, vcc_lo
	v_cmp_ne_u32_e32 vcc_lo, 0, v10
	v_add_nc_u32_e32 v54, 0xfffffc10, v54
	v_and_or_b32 v30, 0xffe, v61, v30
	v_med3_i32 v61, v73, 0, 13
	v_or_b32_e32 v73, 0x1000, v10
	v_lshl_or_b32 v74, v52, 12, v10
	s_wait_alu 0xfffd
	v_cndmask_b32_e64 v10, 0, 1, vcc_lo
	v_cmp_ne_u32_e32 vcc_lo, 0, v22
	v_add_nc_u32_e32 v56, 0xfffffc10, v56
	v_or_b32_e32 v75, 0x1000, v22
	v_lshl_or_b32 v76, v54, 12, v22
	v_add_nc_u32_e32 v58, 0xfffffc10, v58
	s_wait_alu 0xfffd
	v_cndmask_b32_e64 v22, 0, 1, vcc_lo
	v_cmp_ne_u32_e32 vcc_lo, 0, v14
	v_or_b32_e32 v77, 0x1000, v14
	v_lshl_or_b32 v78, v56, 12, v14
	v_lshrrev_b32_e32 v84, v33, v63
	v_add_nc_u32_e32 v60, 0xfffffc10, v60
	s_wait_alu 0xfffd
	v_cndmask_b32_e64 v14, 0, 1, vcc_lo
	v_cmp_ne_u32_e32 vcc_lo, 0, v26
	v_or_b32_e32 v79, 0x1000, v26
	v_lshl_or_b32 v80, v58, 12, v26
	v_lshrrev_b32_e32 v85, v38, v65
	v_lshlrev_b32_e32 v33, v33, v84
	s_wait_alu 0xfffd
	v_cndmask_b32_e64 v26, 0, 1, vcc_lo
	v_cmp_ne_u32_e32 vcc_lo, 0, v28
	v_or_b32_e32 v81, 0x1000, v28
	v_lshl_or_b32 v82, v60, 12, v28
	v_lshrrev_b32_e32 v86, v45, v67
	v_lshlrev_b32_e32 v38, v38, v85
	s_wait_alu 0xfffd
	v_cndmask_b32_e64 v28, 0, 1, vcc_lo
	v_cmp_ne_u32_e32 vcc_lo, v33, v63
	v_lshl_or_b32 v8, v8, 9, 0x7c00
	v_lshrrev_b32_e32 v87, v47, v69
	v_lshlrev_b32_e32 v45, v45, v86
	v_lshl_or_b32 v32, v32, 9, 0x7c00
	s_wait_alu 0xfffd
	v_cndmask_b32_e64 v33, 0, 1, vcc_lo
	v_cmp_ne_u32_e32 vcc_lo, v38, v65
	v_lshrrev_b32_e32 v88, v49, v71
	v_lshlrev_b32_e32 v47, v47, v87
	v_lshrrev_b32_e32 v89, v51, v73
	v_lshl_or_b32 v10, v10, 9, 0x7c00
	s_wait_alu 0xfffd
	v_cndmask_b32_e64 v38, 0, 1, vcc_lo
	v_cmp_ne_u32_e32 vcc_lo, v45, v67
	v_lshlrev_b32_e32 v49, v49, v88
	v_lshl_or_b32 v12, v12, 9, 0x7c00
	v_lshrrev_b32_e32 v90, v53, v75
	v_lshlrev_b32_e32 v51, v51, v89
	s_wait_alu 0xfffd
	v_cndmask_b32_e64 v45, 0, 1, vcc_lo
	v_cmp_ne_u32_e32 vcc_lo, v47, v69
	v_lshl_or_b32 v16, v16, 9, 0x7c00
	v_lshrrev_b32_e32 v91, v55, v77
	v_lshlrev_b32_e32 v53, v53, v90
	v_lshl_or_b32 v20, v20, 9, 0x7c00
	s_wait_alu 0xfffd
	v_cndmask_b32_e64 v47, 0, 1, vcc_lo
	v_cmp_ne_u32_e32 vcc_lo, v49, v71
	v_lshrrev_b32_e32 v92, v57, v79
	v_lshlrev_b32_e32 v55, v55, v91
	v_or_b32_e32 v83, 0x1000, v30
	v_lshl_or_b32 v14, v14, 9, 0x7c00
	s_wait_alu 0xfffd
	v_cndmask_b32_e64 v49, 0, 1, vcc_lo
	v_cmp_ne_u32_e32 vcc_lo, v51, v73
	v_lshrrev_b32_e32 v93, v59, v81
	v_lshlrev_b32_e32 v57, v57, v92
	v_lshl_or_b32 v22, v22, 9, 0x7c00
	v_lshrrev_b32_e32 v94, v61, v83
	s_wait_alu 0xfffd
	v_cndmask_b32_e64 v51, 0, 1, vcc_lo
	v_cmp_ne_u32_e32 vcc_lo, v53, v75
	v_lshlrev_b32_e32 v59, v59, v93
	v_lshl_or_b32 v28, v28, 9, 0x7c00
	v_lshlrev_b32_e32 v61, v61, v94
	v_or_b32_e32 v33, v84, v33
	s_wait_alu 0xfffd
	v_cndmask_b32_e64 v53, 0, 1, vcc_lo
	v_cmp_ne_u32_e32 vcc_lo, v55, v77
	v_or_b32_e32 v38, v85, v38
	v_or_b32_e32 v45, v86, v45
	;; [unrolled: 1-line block ×4, first 2 shown]
	s_wait_alu 0xfffd
	v_cndmask_b32_e64 v55, 0, 1, vcc_lo
	v_cmp_ne_u32_e32 vcc_lo, v57, v79
	v_or_b32_e32 v51, v89, v51
	v_or_b32_e32 v53, v90, v53
	v_lshl_or_b32 v26, v26, 9, 0x7c00
	v_or_b32_e32 v55, v91, v55
	s_wait_alu 0xfffd
	v_cndmask_b32_e64 v57, 0, 1, vcc_lo
	v_cmp_ne_u32_e32 vcc_lo, v59, v81
	v_lshrrev_b32_e32 v9, 16, v9
	v_lshrrev_b32_e32 v13, 16, v13
	;; [unrolled: 1-line block ×3, first 2 shown]
	v_or_b32_e32 v57, v92, v57
	s_wait_alu 0xfffd
	v_cndmask_b32_e64 v59, 0, 1, vcc_lo
	v_cmp_ne_u32_e32 vcc_lo, v61, v83
	v_lshrrev_b32_e32 v11, 16, v11
	v_lshrrev_b32_e32 v23, 16, v23
	;; [unrolled: 1-line block ×3, first 2 shown]
	v_or_b32_e32 v59, v93, v59
	s_wait_alu 0xfffd
	v_cndmask_b32_e64 v61, 0, 1, vcc_lo
	v_cmp_gt_i32_e32 vcc_lo, 1, v35
	v_lshrrev_b32_e32 v17, 16, v17
	v_and_or_b32 v2, 0x1ff, v3, v2
	v_lshrrev_b32_e32 v27, 16, v27
	v_or_b32_e32 v61, v94, v61
	s_wait_alu 0xfffd
	v_cndmask_b32_e32 v33, v64, v33, vcc_lo
	v_cmp_gt_i32_e32 vcc_lo, 1, v39
	v_add_nc_u32_e32 v62, 0xfffffc10, v62
	v_lshrrev_b32_e32 v29, 16, v29
	v_and_or_b32 v0, 0x1ff, v1, v0
	s_wait_alu 0xfffd
	v_dual_cndmask_b32 v38, v66, v38 :: v_dual_and_b32 v63, 7, v33
	v_cmp_gt_i32_e32 vcc_lo, 1, v46
	v_lshrrev_b32_e32 v33, 2, v33
	s_delay_alu instid0(VALU_DEP_3) | instskip(SKIP_3) | instid1(VALU_DEP_2)
	v_cmp_eq_u32_e64 s0, 3, v63
	s_wait_alu 0xfffd
	v_cndmask_b32_e32 v45, v68, v45, vcc_lo
	v_cmp_gt_i32_e32 vcc_lo, 1, v48
	v_and_b32_e32 v65, 7, v45
	s_wait_alu 0xfffd
	v_cndmask_b32_e32 v47, v70, v47, vcc_lo
	v_cmp_gt_i32_e32 vcc_lo, 1, v50
	v_lshrrev_b32_e32 v45, 2, v45
	v_cmp_lt_i32_e64 s3, 5, v65
	v_cmp_eq_u32_e64 s4, 3, v65
	s_wait_alu 0xfffd
	v_cndmask_b32_e32 v49, v72, v49, vcc_lo
	v_cmp_gt_i32_e32 vcc_lo, 1, v52
	s_delay_alu instid0(VALU_DEP_2)
	v_and_b32_e32 v67, 7, v49
	s_wait_alu 0xfffd
	v_cndmask_b32_e32 v51, v74, v51, vcc_lo
	v_cmp_gt_i32_e32 vcc_lo, 1, v54
	v_lshrrev_b32_e32 v49, 2, v49
	v_cmp_lt_i32_e64 s7, 5, v67
	v_cmp_eq_u32_e64 s8, 3, v67
	s_wait_alu 0xfffd
	v_cndmask_b32_e32 v53, v76, v53, vcc_lo
	v_cmp_gt_i32_e32 vcc_lo, 1, v56
	s_delay_alu instid0(VALU_DEP_2)
	;; [unrolled: 11-line block ×3, first 2 shown]
	v_and_b32_e32 v71, 7, v57
	s_wait_alu 0xfffd
	v_cndmask_b32_e32 v59, v82, v59, vcc_lo
	v_cmp_lt_i32_e32 vcc_lo, 5, v63
	v_lshrrev_b32_e32 v57, 2, v57
	v_cmp_lt_i32_e64 s15, 5, v71
	v_cmp_eq_u32_e64 s16, 3, v71
	s_or_b32 vcc_lo, s0, vcc_lo
	s_wait_alu 0xfffe
	v_add_co_ci_u32_e32 v33, vcc_lo, 0, v33, vcc_lo
	v_and_b32_e32 v64, 7, v38
	v_lshrrev_b32_e32 v38, 2, v38
	s_delay_alu instid0(VALU_DEP_2) | instskip(SKIP_1) | instid1(VALU_DEP_1)
	v_cmp_lt_i32_e64 s1, 5, v64
	v_cmp_eq_u32_e64 s2, 3, v64
	s_or_b32 vcc_lo, s2, s1
	s_wait_alu 0xfffe
	v_add_co_ci_u32_e32 v38, vcc_lo, 0, v38, vcc_lo
	s_or_b32 vcc_lo, s4, s3
	s_wait_alu 0xfffe
	v_add_co_ci_u32_e32 v45, vcc_lo, 0, v45, vcc_lo
	v_and_b32_e32 v66, 7, v47
	v_lshrrev_b32_e32 v47, 2, v47
	s_delay_alu instid0(VALU_DEP_2) | instskip(SKIP_1) | instid1(VALU_DEP_1)
	v_cmp_lt_i32_e64 s5, 5, v66
	v_cmp_eq_u32_e64 s6, 3, v66
	s_or_b32 vcc_lo, s6, s5
	s_wait_alu 0xfffe
	v_add_co_ci_u32_e32 v47, vcc_lo, 0, v47, vcc_lo
	s_or_b32 vcc_lo, s8, s7
	;; [unrolled: 11-line block ×4, first 2 shown]
	s_wait_alu 0xfffe
	v_add_co_ci_u32_e32 v57, vcc_lo, 0, v57, vcc_lo
	v_and_b32_e32 v72, 7, v59
	v_lshrrev_b32_e32 v59, 2, v59
	s_delay_alu instid0(VALU_DEP_2) | instskip(SKIP_1) | instid1(VALU_DEP_1)
	v_cmp_lt_i32_e64 s17, 5, v72
	v_cmp_eq_u32_e64 s18, 3, v72
	s_or_b32 vcc_lo, s18, s17
	s_wait_alu 0xfffe
	v_add_co_ci_u32_e32 v59, vcc_lo, 0, v59, vcc_lo
	v_cmp_gt_i32_e32 vcc_lo, 31, v35
	s_wait_alu 0xfffd
	v_cndmask_b32_e32 v33, 0x7c00, v33, vcc_lo
	v_cmp_gt_i32_e32 vcc_lo, 31, v39
	s_wait_alu 0xfffd
	v_cndmask_b32_e32 v38, 0x7c00, v38, vcc_lo
	;; [unrolled: 3-line block ×10, first 2 shown]
	v_cmp_eq_u32_e32 vcc_lo, 0x40f, v35
	s_wait_alu 0xfffd
	v_cndmask_b32_e32 v32, v33, v32, vcc_lo
	v_cmp_eq_u32_e32 vcc_lo, 0x40f, v39
	s_delay_alu instid0(VALU_DEP_2) | instskip(SKIP_3) | instid1(VALU_DEP_2)
	v_and_or_b32 v32, 0x8000, v36, v32
	s_wait_alu 0xfffd
	v_cndmask_b32_e32 v8, v38, v8, vcc_lo
	v_cmp_eq_u32_e32 vcc_lo, 0x40f, v46
	v_and_or_b32 v8, 0x8000, v9, v8
	s_wait_alu 0xfffd
	v_cndmask_b32_e32 v12, v45, v12, vcc_lo
	v_cmp_eq_u32_e32 vcc_lo, 0x40f, v48
	s_delay_alu instid0(VALU_DEP_2) | instskip(SKIP_3) | instid1(VALU_DEP_3)
	v_and_or_b32 v9, 0x8000, v13, v12
	s_wait_alu 0xfffd
	v_cndmask_b32_e32 v16, v47, v16, vcc_lo
	v_cmp_eq_u32_e32 vcc_lo, 0x40f, v50
	v_and_b32_e32 v9, 0xffff, v9
	s_delay_alu instid0(VALU_DEP_3) | instskip(SKIP_3) | instid1(VALU_DEP_3)
	v_and_or_b32 v12, 0x8000, v17, v16
	s_wait_alu 0xfffd
	v_cndmask_b32_e32 v20, v49, v20, vcc_lo
	v_cmp_eq_u32_e32 vcc_lo, 0x40f, v52
	v_lshl_or_b32 v9, v12, 16, v9
	s_delay_alu instid0(VALU_DEP_3)
	v_and_or_b32 v13, 0x8000, v21, v20
	s_wait_alu 0xfffd
	v_cndmask_b32_e32 v10, v51, v10, vcc_lo
	v_cmp_eq_u32_e32 vcc_lo, 0x40f, v54
	s_wait_loadcnt 0x3
	v_lshrrev_b32_e32 v21, 16, v4
	v_and_b32_e32 v13, 0xffff, v13
	v_and_or_b32 v10, 0x8000, v11, v10
	s_wait_alu 0xfffd
	v_cndmask_b32_e32 v22, v53, v22, vcc_lo
	v_cmp_eq_u32_e32 vcc_lo, 0x40f, v56
	s_delay_alu instid0(VALU_DEP_3) | instskip(NEXT) | instid1(VALU_DEP_3)
	v_lshl_or_b32 v10, v10, 16, v13
	v_and_or_b32 v11, 0x8000, v23, v22
	s_wait_alu 0xfffd
	v_cndmask_b32_e32 v14, v55, v14, vcc_lo
	v_cmp_eq_u32_e32 vcc_lo, 0x40f, v58
	s_delay_alu instid0(VALU_DEP_3) | instskip(NEXT) | instid1(VALU_DEP_3)
	v_and_b32_e32 v11, 0xffff, v11
	v_and_or_b32 v14, 0x8000, v15, v14
	s_wait_alu 0xfffd
	v_dual_cndmask_b32 v26, v57, v26 :: v_dual_and_b32 v15, 0xffff, v32
	v_cmp_eq_u32_e32 vcc_lo, 0x40f, v60
	s_delay_alu instid0(VALU_DEP_3) | instskip(NEXT) | instid1(VALU_DEP_3)
	v_lshl_or_b32 v11, v14, 16, v11
	v_lshl_or_b32 v8, v8, 16, v15
	s_clause 0x3
	global_store_b32 v[18:19], v8, off
	global_store_b32 v[40:41], v9, off
	global_store_b32 v[42:43], v10, off
	global_store_b32 v[24:25], v11, off
	s_wait_alu 0xfffd
	v_cndmask_b32_e32 v16, v59, v28, vcc_lo
	v_lshl_or_b32 v8, v62, 12, v30
	v_cvt_f32_f16_e32 v9, v44
	v_cmp_gt_i32_e32 vcc_lo, 1, v62
	v_add_nc_u32_e32 v10, 0xf00, v37
	v_lshrrev_b32_e32 v14, 8, v3
	v_bfe_u32 v15, v3, 20, 11
	v_and_or_b32 v12, 0x8000, v27, v26
	s_wait_alu 0xfffd
	v_cndmask_b32_e32 v13, v8, v61, vcc_lo
	v_cvt_f64_f32_e32 v[8:9], v9
	v_cmp_ne_u32_e32 vcc_lo, 0, v2
	ds_load_2addr_b32 v[10:11], v10 offset0:48 offset1:192
	v_and_or_b32 v16, 0x8000, v29, v16
	v_and_b32_e32 v17, 7, v13
	v_lshrrev_b32_e32 v13, 2, v13
	s_wait_alu 0xfffd
	v_cndmask_b32_e64 v2, 0, 1, vcc_lo
	v_and_b32_e32 v12, 0xffff, v12
	v_add_nc_u32_e32 v26, 0xfffffc10, v15
	v_cmp_lt_i32_e32 vcc_lo, 5, v17
	v_cmp_eq_u32_e64 s0, 3, v17
	v_and_or_b32 v2, 0xffe, v14, v2
	v_sub_nc_u32_e32 v14, 0x3f1, v15
	v_lshl_or_b32 v16, v16, 16, v12
	v_lshrrev_b32_e32 v3, 16, v3
	s_or_b32 vcc_lo, s0, vcc_lo
	v_or_b32_e32 v17, 0x1000, v2
	v_med3_i32 v14, v14, 0, 13
	s_wait_alu 0xfffe
	v_add_co_ci_u32_e32 v18, vcc_lo, 0, v13, vcc_lo
	v_add_co_u32 v12, vcc_lo, v24, s22
	s_wait_alu 0xfffd
	v_add_co_ci_u32_e32 v13, vcc_lo, s23, v25, vcc_lo
	v_lshrrev_b32_e32 v19, v14, v17
	v_cmp_gt_i32_e32 vcc_lo, 31, v62
	s_wait_dscnt 0x0
	v_lshrrev_b32_e32 v20, 16, v10
	v_bfe_u32 v24, v1, 20, 11
	global_load_b32 v25, v34, s[20:21] offset:6336
	v_lshlrev_b32_e32 v14, v14, v19
	s_wait_alu 0xfffd
	v_cndmask_b32_e32 v18, 0x7c00, v18, vcc_lo
	v_cmp_ne_u32_e32 vcc_lo, 0, v30
	v_mul_f16_e32 v22, v20, v21
	global_store_b32 v[12:13], v16, off
	s_wait_alu 0xfffd
	v_cndmask_b32_e64 v23, 0, 1, vcc_lo
	v_cmp_ne_u32_e32 vcc_lo, v14, v17
	v_fmac_f16_e32 v22, v10, v4
	v_mul_f64_e32 v[8:9], s[24:25], v[8:9]
	v_mul_f16_e32 v10, v10, v21
	v_lshl_or_b32 v23, v23, 9, 0x7c00
	s_wait_alu 0xfffd
	v_cndmask_b32_e64 v17, 0, 1, vcc_lo
	v_cmp_ne_u32_e32 vcc_lo, 0, v0
	v_cvt_f32_f16_e32 v14, v22
	v_lshrrev_b32_e32 v22, 8, v1
	v_fma_f16 v4, v4, v20, -v10
	v_or_b32_e32 v17, v19, v17
	s_wait_alu 0xfffd
	v_cndmask_b32_e64 v0, 0, 1, vcc_lo
	v_cvt_f64_f32_e32 v[14:15], v14
	v_lshl_or_b32 v19, v26, 12, v2
	v_cmp_gt_i32_e32 vcc_lo, 1, v26
	v_cvt_f32_f16_e32 v4, v4
	v_and_or_b32 v0, 0xffe, v22, v0
	v_sub_nc_u32_e32 v22, 0x3f1, v24
	s_wait_alu 0xfffd
	v_cndmask_b32_e32 v17, v19, v17, vcc_lo
	v_cmp_eq_u32_e32 vcc_lo, 0x40f, v62
	v_or_b32_e32 v27, 0x1000, v0
	v_med3_i32 v22, v22, 0, 13
	v_lshrrev_b32_e32 v19, 16, v31
	v_and_b32_e32 v28, 7, v17
	s_wait_alu 0xfffd
	v_cndmask_b32_e32 v18, v18, v23, vcc_lo
	v_lshrrev_b32_e32 v10, 2, v17
	v_lshrrev_b32_e32 v23, v22, v27
	v_cmp_lt_i32_e32 vcc_lo, 5, v28
	v_cmp_eq_u32_e64 s0, 3, v28
	v_and_or_b32 v18, 0x8000, v19, v18
	s_delay_alu instid0(VALU_DEP_4) | instskip(SKIP_1) | instid1(VALU_DEP_4)
	v_lshlrev_b32_e32 v16, v22, v23
	v_add_nc_u32_e32 v19, 0xfffffc10, v24
	s_or_b32 vcc_lo, s0, vcc_lo
	s_delay_alu instid0(VALU_DEP_3) | instskip(NEXT) | instid1(VALU_DEP_3)
	v_and_b32_e32 v18, 0xffff, v18
	v_cmp_ne_u32_e64 s1, v16, v27
	s_wait_alu 0xfffe
	v_add_co_ci_u32_e32 v10, vcc_lo, 0, v10, vcc_lo
	v_cmp_ne_u32_e32 vcc_lo, 0, v2
	v_lshl_or_b32 v21, v19, 12, v0
	s_wait_alu 0xf1ff
	v_cndmask_b32_e64 v16, 0, 1, s1
	v_and_or_b32 v8, 0x1ff, v9, v8
	v_cmp_eq_u32_e64 s1, 0x40f, v26
	s_wait_alu 0xfffd
	v_cndmask_b32_e64 v2, 0, 1, vcc_lo
	v_cmp_gt_i32_e32 vcc_lo, 1, v19
	v_or_b32_e32 v20, v23, v16
	v_cvt_f64_f32_e32 v[16:17], v4
	v_mul_f64_e32 v[14:15], s[24:25], v[14:15]
	v_lshl_or_b32 v2, v2, 9, 0x7c00
	s_wait_alu 0xfffd
	v_cndmask_b32_e32 v4, v21, v20, vcc_lo
	v_cmp_ne_u32_e32 vcc_lo, 0, v8
	v_lshrrev_b32_e32 v20, 8, v9
	v_bfe_u32 v21, v9, 20, 11
	s_delay_alu instid0(VALU_DEP_4)
	v_and_b32_e32 v22, 7, v4
	s_wait_alu 0xfffd
	v_cndmask_b32_e64 v8, 0, 1, vcc_lo
	v_cmp_gt_i32_e32 vcc_lo, 31, v26
	v_lshrrev_b32_e32 v4, 2, v4
	v_cmp_eq_u32_e64 s0, 3, v22
	s_delay_alu instid0(VALU_DEP_4)
	v_and_or_b32 v8, 0xffe, v20, v8
	v_sub_nc_u32_e32 v20, 0x3f1, v21
	s_wait_alu 0xfffd
	v_cndmask_b32_e32 v10, 0x7c00, v10, vcc_lo
	v_cmp_lt_i32_e32 vcc_lo, 5, v22
	v_add_nc_u32_e32 v21, 0xfffffc10, v21
	v_or_b32_e32 v22, 0x1000, v8
	v_med3_i32 v20, v20, 0, 13
	s_wait_alu 0xf1ff
	v_cndmask_b32_e64 v2, v10, v2, s1
	s_or_b32 vcc_lo, s0, vcc_lo
	s_wait_alu 0xfffe
	v_add_co_ci_u32_e32 v4, vcc_lo, 0, v4, vcc_lo
	v_lshrrev_b32_e32 v10, v20, v22
	v_cmp_gt_i32_e32 vcc_lo, 31, v19
	v_and_or_b32 v23, 0x8000, v3, v2
	s_delay_alu instid0(VALU_DEP_3)
	v_lshlrev_b32_e32 v2, v20, v10
	s_wait_alu 0xfffd
	v_cndmask_b32_e32 v4, 0x7c00, v4, vcc_lo
	v_cmp_ne_u32_e32 vcc_lo, 0, v0
	v_lshl_or_b32 v18, v23, 16, v18
	s_wait_alu 0xfffd
	v_cndmask_b32_e64 v0, 0, 1, vcc_lo
	v_cmp_ne_u32_e32 vcc_lo, v2, v22
	v_mul_f64_e32 v[2:3], s[24:25], v[16:17]
	v_lshrrev_b32_e32 v16, 16, v11
	s_wait_loadcnt 0x3
	v_lshrrev_b32_e32 v17, 16, v5
	v_and_or_b32 v14, 0x1ff, v15, v14
	s_wait_alu 0xfffd
	v_cndmask_b32_e64 v20, 0, 1, vcc_lo
	v_cmp_gt_i32_e32 vcc_lo, 1, v21
	v_lshl_or_b32 v0, v0, 9, 0x7c00
	v_mul_f16_e32 v22, v16, v17
	v_bfe_u32 v24, v15, 20, 11
	v_or_b32_e32 v10, v10, v20
	v_lshl_or_b32 v20, v21, 12, v8
	s_delay_alu instid0(VALU_DEP_4) | instskip(SKIP_2) | instid1(VALU_DEP_3)
	v_fmac_f16_e32 v22, v11, v5
	v_mul_f16_e32 v11, v11, v17
	s_wait_alu 0xfffd
	v_cndmask_b32_e32 v10, v20, v10, vcc_lo
	v_cmp_ne_u32_e32 vcc_lo, 0, v14
	v_lshrrev_b32_e32 v20, 8, v15
	v_fma_f16 v5, v5, v16, -v11
	s_wait_alu 0xfffd
	v_cndmask_b32_e64 v14, 0, 1, vcc_lo
	v_cmp_eq_u32_e32 vcc_lo, 0x40f, v19
	v_and_b32_e32 v19, 7, v10
	v_lshrrev_b32_e32 v10, 2, v10
	s_delay_alu instid0(VALU_DEP_4)
	v_and_or_b32 v14, 0xffe, v20, v14
	s_wait_alu 0xfffd
	v_cndmask_b32_e32 v4, v4, v0, vcc_lo
	v_cvt_f32_f16_e32 v0, v22
	v_sub_nc_u32_e32 v20, 0x3f1, v24
	v_cmp_lt_i32_e32 vcc_lo, 5, v19
	v_cmp_eq_u32_e64 s0, 3, v19
	v_lshrrev_b32_e32 v22, 16, v1
	v_cvt_f64_f32_e32 v[0:1], v0
	v_or_b32_e32 v26, 0x1000, v14
	v_med3_i32 v20, v20, 0, 13
	s_or_b32 vcc_lo, s0, vcc_lo
	v_and_or_b32 v19, 0x8000, v22, v4
	s_wait_alu 0xfffe
	v_add_co_ci_u32_e32 v10, vcc_lo, 0, v10, vcc_lo
	v_lshrrev_b32_e32 v4, v20, v26
	v_cmp_ne_u32_e32 vcc_lo, 0, v8
	v_and_or_b32 v2, 0x1ff, v3, v2
	v_add_nc_u32_e32 v22, 0xfffffc10, v24
	v_bfe_u32 v23, v3, 20, 11
	v_lshlrev_b32_e32 v20, v20, v4
	s_wait_alu 0xfffd
	v_cndmask_b32_e64 v8, 0, 1, vcc_lo
	v_cmp_gt_i32_e32 vcc_lo, 31, v21
	v_lshrrev_b32_e32 v17, 8, v3
	v_sub_nc_u32_e32 v11, 0x3f1, v23
	v_lshrrev_b32_e32 v24, 16, v9
	v_lshl_or_b32 v8, v8, 9, 0x7c00
	s_wait_alu 0xfffd
	v_cndmask_b32_e32 v10, 0x7c00, v10, vcc_lo
	v_cmp_ne_u32_e32 vcc_lo, v20, v26
	v_and_b32_e32 v19, 0xffff, v19
	s_wait_alu 0xfffd
	v_cndmask_b32_e64 v20, 0, 1, vcc_lo
	v_cmp_ne_u32_e32 vcc_lo, 0, v2
	s_delay_alu instid0(VALU_DEP_2) | instskip(SKIP_4) | instid1(VALU_DEP_3)
	v_or_b32_e32 v4, v4, v20
	s_wait_alu 0xfffd
	v_cndmask_b32_e64 v2, 0, 1, vcc_lo
	v_lshl_or_b32 v20, v22, 12, v14
	v_cmp_gt_i32_e32 vcc_lo, 1, v22
	v_and_or_b32 v2, 0xffe, v17, v2
	s_wait_alu 0xfffd
	s_delay_alu instid0(VALU_DEP_3)
	v_cndmask_b32_e32 v16, v20, v4, vcc_lo
	v_cvt_f32_f16_e32 v4, v5
	v_med3_i32 v20, v11, 0, 13
	v_add_nc_u32_e32 v11, 0x1400, v37
	v_cmp_eq_u32_e32 vcc_lo, 0x40f, v21
	v_mul_f64_e32 v[0:1], s[24:25], v[0:1]
	v_cvt_f64_f32_e32 v[4:5], v4
	v_or_b32_e32 v17, 0x1000, v2
	v_and_b32_e32 v26, 7, v16
	s_wait_alu 0xfffd
	v_cndmask_b32_e32 v21, v10, v8, vcc_lo
	ds_load_2addr_b32 v[10:11], v11 offset0:16 offset1:160
	v_add_co_u32 v8, vcc_lo, v12, s22
	v_lshrrev_b32_e32 v27, v20, v17
	s_wait_alu 0xfffd
	v_add_co_ci_u32_e32 v9, vcc_lo, s23, v13, vcc_lo
	v_cmp_lt_i32_e32 vcc_lo, 5, v26
	v_cmp_eq_u32_e64 s0, 3, v26
	v_lshlrev_b32_e32 v12, v20, v27
	v_lshrrev_b32_e32 v13, 2, v16
	v_add_nc_u32_e32 v16, 0xfffffc10, v23
	s_wait_loadcnt 0x2
	v_lshrrev_b32_e32 v20, 16, v6
	s_or_b32 vcc_lo, s0, vcc_lo
	v_cmp_ne_u32_e64 s1, v12, v17
	s_wait_alu 0xfffe
	v_add_co_ci_u32_e32 v13, vcc_lo, 0, v13, vcc_lo
	v_cmp_ne_u32_e32 vcc_lo, 0, v14
	v_and_or_b32 v21, 0x8000, v24, v21
	s_wait_alu 0xf1ff
	v_cndmask_b32_e64 v12, 0, 1, s1
	v_lshl_or_b32 v23, v16, 12, v2
	s_wait_dscnt 0x0
	v_lshrrev_b32_e32 v17, 16, v10
	s_wait_alu 0xfffd
	v_cndmask_b32_e64 v14, 0, 1, vcc_lo
	v_cmp_gt_i32_e32 vcc_lo, 1, v16
	v_or_b32_e32 v12, v27, v12
	v_lshl_or_b32 v19, v21, 16, v19
	v_mul_f16_e32 v24, v17, v20
	s_wait_alu 0xfffd
	s_delay_alu instid0(VALU_DEP_3) | instskip(SKIP_1) | instid1(VALU_DEP_3)
	v_cndmask_b32_e32 v23, v23, v12, vcc_lo
	v_cmp_gt_i32_e32 vcc_lo, 31, v22
	v_fmac_f16_e32 v24, v10, v6
	v_mul_f16_e32 v10, v10, v20
	v_and_or_b32 v0, 0x1ff, v1, v0
	v_mul_f64_e32 v[4:5], s[24:25], v[4:5]
	s_wait_alu 0xfffd
	v_cndmask_b32_e32 v12, 0x7c00, v13, vcc_lo
	v_lshl_or_b32 v13, v14, 9, 0x7c00
	v_cvt_f32_f16_e32 v24, v24
	v_cmp_eq_u32_e32 vcc_lo, 0x40f, v22
	v_and_b32_e32 v14, 7, v23
	v_cmp_ne_u32_e64 s0, 0, v0
	v_bfe_u32 v26, v1, 20, 11
	v_fma_f16 v6, v6, v17, -v10
	s_wait_alu 0xfffd
	v_cndmask_b32_e32 v22, v12, v13, vcc_lo
	v_cvt_f64_f32_e32 v[12:13], v24
	v_cmp_lt_i32_e32 vcc_lo, 5, v14
	s_wait_alu 0xf1ff
	v_cndmask_b32_e64 v0, 0, 1, s0
	v_cmp_eq_u32_e64 s0, 3, v14
	v_lshrrev_b32_e32 v24, 8, v1
	v_lshrrev_b32_e32 v14, 16, v15
	;; [unrolled: 1-line block ×3, first 2 shown]
	v_sub_nc_u32_e32 v23, 0x3f1, v26
	s_or_b32 vcc_lo, s0, vcc_lo
	v_and_or_b32 v0, 0xffe, v24, v0
	v_and_or_b32 v14, 0x8000, v14, v22
	s_wait_alu 0xfffe
	v_add_co_ci_u32_e32 v15, vcc_lo, 0, v15, vcc_lo
	v_cmp_ne_u32_e32 vcc_lo, 0, v2
	v_or_b32_e32 v24, 0x1000, v0
	v_med3_i32 v23, v23, 0, 13
	v_add_nc_u32_e32 v20, 0xfffffc10, v26
	v_cvt_f32_f16_e32 v6, v6
	s_wait_alu 0xfffd
	v_cndmask_b32_e64 v2, 0, 1, vcc_lo
	v_cmp_gt_i32_e32 vcc_lo, 31, v16
	v_lshrrev_b32_e32 v21, v23, v24
	v_lshrrev_b32_e32 v1, 16, v1
	s_delay_alu instid0(VALU_DEP_4)
	v_lshl_or_b32 v2, v2, 9, 0x7c00
	s_wait_alu 0xfffd
	v_cndmask_b32_e32 v15, 0x7c00, v15, vcc_lo
	v_cmp_eq_u32_e32 vcc_lo, 0x40f, v16
	v_lshlrev_b32_e32 v22, v23, v21
	v_lshrrev_b32_e32 v16, 16, v3
	v_and_or_b32 v4, 0x1ff, v5, v4
	v_and_b32_e32 v23, 0xffff, v14
	s_wait_alu 0xfffd
	v_cndmask_b32_e32 v15, v15, v2, vcc_lo
	v_add_co_u32 v2, vcc_lo, v8, s22
	s_wait_alu 0xfffd
	v_add_co_ci_u32_e32 v3, vcc_lo, s23, v9, vcc_lo
	v_cmp_ne_u32_e32 vcc_lo, v22, v24
	v_lshrrev_b32_e32 v10, 8, v5
	v_bfe_u32 v17, v5, 20, 11
	v_mul_f64_e32 v[12:13], s[24:25], v[12:13]
	v_and_or_b32 v16, 0x8000, v16, v15
	s_wait_alu 0xfffd
	v_cndmask_b32_e64 v14, 0, 1, vcc_lo
	v_cmp_ne_u32_e32 vcc_lo, 0, v4
	v_lshl_or_b32 v15, v20, 12, v0
	global_store_b32 v[8:9], v18, off
	global_store_b32 v[2:3], v19, off
	v_lshrrev_b32_e32 v18, 16, v11
	v_or_b32_e32 v14, v21, v14
	s_wait_alu 0xfffd
	v_cndmask_b32_e64 v4, 0, 1, vcc_lo
	v_cmp_gt_i32_e32 vcc_lo, 1, v20
	s_wait_loadcnt 0x1
	v_lshrrev_b32_e32 v19, 16, v7
	v_lshl_or_b32 v16, v16, 16, v23
	v_lshrrev_b32_e32 v5, 16, v5
	v_and_or_b32 v4, 0xffe, v10, v4
	v_sub_nc_u32_e32 v10, 0x3f1, v17
	s_wait_alu 0xfffd
	v_cndmask_b32_e32 v21, v15, v14, vcc_lo
	v_cvt_f64_f32_e32 v[14:15], v6
	v_add_co_u32 v2, vcc_lo, v2, s22
	v_or_b32_e32 v6, 0x1000, v4
	v_med3_i32 v10, v10, 0, 13
	v_and_b32_e32 v8, 7, v21
	s_wait_alu 0xfffd
	v_add_co_ci_u32_e32 v3, vcc_lo, s23, v3, vcc_lo
	s_delay_alu instid0(VALU_DEP_3) | instskip(NEXT) | instid1(VALU_DEP_3)
	v_lshrrev_b32_e32 v9, v10, v6
	v_cmp_lt_i32_e32 vcc_lo, 5, v8
	v_cmp_eq_u32_e64 s0, 3, v8
	v_lshrrev_b32_e32 v8, 2, v21
	s_delay_alu instid0(VALU_DEP_4) | instskip(NEXT) | instid1(VALU_DEP_3)
	v_lshlrev_b32_e32 v10, v10, v9
	s_or_b32 vcc_lo, s0, vcc_lo
	s_wait_alu 0xfffe
	s_delay_alu instid0(VALU_DEP_2) | instskip(NEXT) | instid1(VALU_DEP_2)
	v_add_co_ci_u32_e32 v21, vcc_lo, 0, v8, vcc_lo
	v_cmp_ne_u32_e64 s1, v10, v6
	v_add_nc_u32_e32 v10, 0xfffffc10, v17
	v_mul_f16_e32 v17, v18, v19
	v_cmp_ne_u32_e32 vcc_lo, 0, v0
	v_lshrrev_b32_e32 v22, 8, v13
	s_wait_alu 0xf1ff
	v_cndmask_b32_e64 v6, 0, 1, s1
	v_lshl_or_b32 v8, v10, 12, v4
	v_fmac_f16_e32 v17, v11, v7
	s_wait_alu 0xfffd
	v_cndmask_b32_e64 v0, 0, 1, vcc_lo
	v_cmp_gt_i32_e32 vcc_lo, 1, v10
	v_or_b32_e32 v6, v9, v6
	v_and_or_b32 v9, 0x1ff, v13, v12
	v_cvt_f32_f16_e32 v12, v17
	v_lshl_or_b32 v0, v0, 9, 0x7c00
	v_cmp_eq_u32_e64 s1, 0x40f, v20
	s_wait_alu 0xfffd
	v_cndmask_b32_e32 v6, v8, v6, vcc_lo
	v_cmp_ne_u32_e32 vcc_lo, 0, v9
	v_cvt_f64_f32_e32 v[8:9], v12
	v_bfe_u32 v12, v13, 20, 11
	v_mul_f64_e32 v[14:15], s[24:25], v[14:15]
	v_and_b32_e32 v23, 7, v6
	s_wait_alu 0xfffd
	v_cndmask_b32_e64 v17, 0, 1, vcc_lo
	v_cmp_gt_i32_e32 vcc_lo, 31, v20
	v_lshrrev_b32_e32 v6, 2, v6
	v_cmp_eq_u32_e64 s0, 3, v23
	s_delay_alu instid0(VALU_DEP_4)
	v_and_or_b32 v17, 0xffe, v22, v17
	v_sub_nc_u32_e32 v22, 0x3f1, v12
	s_wait_alu 0xfffd
	v_cndmask_b32_e32 v21, 0x7c00, v21, vcc_lo
	v_cmp_lt_i32_e32 vcc_lo, 5, v23
	v_add_nc_u32_e32 v12, 0xfffffc10, v12
	v_or_b32_e32 v23, 0x1000, v17
	v_med3_i32 v22, v22, 0, 13
	s_wait_alu 0xf1ff
	v_cndmask_b32_e64 v0, v21, v0, s1
	s_or_b32 vcc_lo, s0, vcc_lo
	s_wait_alu 0xfffe
	v_add_co_ci_u32_e32 v6, vcc_lo, 0, v6, vcc_lo
	v_lshrrev_b32_e32 v20, v22, v23
	v_cmp_ne_u32_e32 vcc_lo, 0, v4
	v_and_or_b32 v21, 0x8000, v1, v0
	s_delay_alu instid0(VALU_DEP_3) | instskip(SKIP_4) | instid1(VALU_DEP_3)
	v_lshlrev_b32_e32 v0, v22, v20
	s_wait_alu 0xfffd
	v_cndmask_b32_e64 v4, 0, 1, vcc_lo
	v_cmp_gt_i32_e32 vcc_lo, 31, v10
	v_and_b32_e32 v21, 0xffff, v21
	v_lshl_or_b32 v4, v4, 9, 0x7c00
	s_wait_alu 0xfffd
	v_cndmask_b32_e32 v1, 0x7c00, v6, vcc_lo
	v_cmp_ne_u32_e32 vcc_lo, v0, v23
	v_add_nc_u32_e32 v6, 0x1800, v37
	v_mul_f64_e32 v[8:9], s[24:25], v[8:9]
	s_wait_alu 0xfffd
	v_cndmask_b32_e64 v22, 0, 1, vcc_lo
	v_cmp_eq_u32_e32 vcc_lo, 0x40f, v10
	v_mul_f16_e32 v10, v11, v19
	v_lshl_or_b32 v11, v12, 12, v17
	v_and_or_b32 v14, 0x1ff, v15, v14
	s_wait_alu 0xfffd
	v_cndmask_b32_e32 v4, v1, v4, vcc_lo
	ds_load_2addr_b32 v[0:1], v6 offset0:48 offset1:192
	v_or_b32_e32 v6, v20, v22
	v_fma_f16 v7, v7, v18, -v10
	v_cmp_gt_i32_e32 vcc_lo, 1, v12
	v_and_or_b32 v18, 0x8000, v5, v4
	s_delay_alu instid0(VALU_DEP_3)
	v_cvt_f32_f16_e32 v7, v7
	s_wait_alu 0xfffd
	v_cndmask_b32_e32 v6, v11, v6, vcc_lo
	v_cmp_ne_u32_e32 vcc_lo, 0, v14
	v_lshrrev_b32_e32 v11, 8, v15
	v_bfe_u32 v14, v15, 20, 11
	v_cvt_f64_f32_e32 v[4:5], v7
	v_and_b32_e32 v19, 7, v6
	s_wait_alu 0xfffd
	v_cndmask_b32_e64 v10, 0, 1, vcc_lo
	v_lshrrev_b32_e32 v6, 2, v6
	v_sub_nc_u32_e32 v7, 0x3f1, v14
	v_lshl_or_b32 v18, v18, 16, v21
	v_cmp_lt_i32_e32 vcc_lo, 5, v19
	v_and_or_b32 v20, 0xffe, v11, v10
	s_wait_dscnt 0x0
	v_lshrrev_b32_e32 v10, 16, v0
	s_wait_loadcnt 0x0
	v_lshrrev_b32_e32 v11, 16, v25
	v_cmp_eq_u32_e64 s0, 3, v19
	v_med3_i32 v7, v7, 0, 13
	v_or_b32_e32 v22, 0x1000, v20
	v_add_nc_u32_e32 v14, 0xfffffc10, v14
	v_mul_f16_e32 v23, v10, v11
	s_or_b32 vcc_lo, s0, vcc_lo
	v_lshrrev_b32_e32 v15, 16, v15
	s_wait_alu 0xfffe
	v_add_co_ci_u32_e32 v6, vcc_lo, 0, v6, vcc_lo
	v_lshrrev_b32_e32 v19, v7, v22
	v_fmac_f16_e32 v23, v0, v25
	v_cmp_ne_u32_e32 vcc_lo, 0, v17
	v_and_or_b32 v8, 0x1ff, v9, v8
	v_mul_f16_e32 v0, v0, v11
	v_lshlrev_b32_e32 v21, v7, v19
	v_cvt_f32_f16_e32 v7, v23
	s_wait_alu 0xfffd
	v_cndmask_b32_e64 v17, 0, 1, vcc_lo
	v_cmp_gt_i32_e32 vcc_lo, 31, v12
	v_lshrrev_b32_e32 v11, 8, v9
	v_fma_f16 v0, v25, v10, -v0
	v_lshl_or_b32 v10, v14, 12, v20
	v_lshl_or_b32 v17, v17, 9, 0x7c00
	s_wait_alu 0xfffd
	v_cndmask_b32_e32 v23, 0x7c00, v6, vcc_lo
	v_cvt_f64_f32_e32 v[6:7], v7
	v_cmp_ne_u32_e32 vcc_lo, v21, v22
	v_cvt_f32_f16_e32 v0, v0
	v_mul_f64_e32 v[4:5], s[24:25], v[4:5]
	s_wait_alu 0xfffd
	v_cndmask_b32_e64 v21, 0, 1, vcc_lo
	v_cmp_ne_u32_e32 vcc_lo, 0, v8
	s_delay_alu instid0(VALU_DEP_2)
	v_or_b32_e32 v19, v19, v21
	s_wait_alu 0xfffd
	v_cndmask_b32_e64 v8, 0, 1, vcc_lo
	v_bfe_u32 v21, v9, 20, 11
	v_cmp_gt_i32_e32 vcc_lo, 1, v14
	v_lshrrev_b32_e32 v9, 16, v9
	s_delay_alu instid0(VALU_DEP_4) | instskip(NEXT) | instid1(VALU_DEP_4)
	v_and_or_b32 v8, 0xffe, v11, v8
	v_sub_nc_u32_e32 v11, 0x3f1, v21
	s_wait_alu 0xfffd
	v_cndmask_b32_e32 v19, v10, v19, vcc_lo
	v_cmp_eq_u32_e32 vcc_lo, 0x40f, v12
	v_add_nc_u32_e32 v21, 0xfffffc10, v21
	v_or_b32_e32 v22, 0x1000, v8
	v_med3_i32 v24, v11, 0, 13
	v_cvt_f64_f32_e32 v[10:11], v0
	s_wait_alu 0xfffd
	v_dual_cndmask_b32 v0, v23, v17 :: v_dual_and_b32 v23, 7, v19
	v_lshrrev_b32_e32 v17, 16, v13
	v_add_co_u32 v12, vcc_lo, v2, s22
	v_lshrrev_b32_e32 v25, v24, v22
	s_wait_alu 0xfffd
	v_add_co_ci_u32_e32 v13, vcc_lo, s23, v3, vcc_lo
	v_cmp_lt_i32_e32 vcc_lo, 5, v23
	v_cmp_eq_u32_e64 s0, 3, v23
	v_and_or_b32 v0, 0x8000, v17, v0
	v_lshrrev_b32_e32 v17, 2, v19
	v_lshlrev_b32_e32 v24, v24, v25
	v_mul_f64_e32 v[6:7], s[24:25], v[6:7]
	s_or_b32 vcc_lo, s0, vcc_lo
	v_and_b32_e32 v0, 0xffff, v0
	s_wait_alu 0xfffe
	v_add_co_ci_u32_e32 v17, vcc_lo, 0, v17, vcc_lo
	v_cmp_ne_u32_e64 s1, v24, v22
	v_cmp_ne_u32_e32 vcc_lo, 0, v20
	v_lshl_or_b32 v22, v21, 12, v8
	v_and_or_b32 v4, 0x1ff, v5, v4
	s_wait_alu 0xf1ff
	v_cndmask_b32_e64 v19, 0, 1, s1
	s_wait_alu 0xfffd
	v_cndmask_b32_e64 v20, 0, 1, vcc_lo
	v_cmp_gt_i32_e32 vcc_lo, 31, v14
	s_delay_alu instid0(VALU_DEP_3) | instskip(NEXT) | instid1(VALU_DEP_3)
	v_or_b32_e32 v19, v25, v19
	v_lshl_or_b32 v20, v20, 9, 0x7c00
	s_wait_alu 0xfffd
	v_cndmask_b32_e32 v17, 0x7c00, v17, vcc_lo
	v_cmp_gt_i32_e32 vcc_lo, 1, v21
	s_wait_alu 0xfffd
	v_cndmask_b32_e32 v19, v22, v19, vcc_lo
	v_cmp_eq_u32_e32 vcc_lo, 0x40f, v14
	v_mul_f64_e32 v[10:11], s[24:25], v[10:11]
	v_bfe_u32 v22, v5, 20, 11
	s_wait_alu 0xfffd
	v_cndmask_b32_e32 v14, v17, v20, vcc_lo
	v_cmp_ne_u32_e32 vcc_lo, 0, v4
	v_and_b32_e32 v17, 7, v19
	v_lshrrev_b32_e32 v20, 8, v5
	v_lshrrev_b32_e32 v5, 16, v5
	v_and_or_b32 v14, 0x8000, v15, v14
	s_wait_alu 0xfffd
	v_cndmask_b32_e64 v4, 0, 1, vcc_lo
	v_cmp_lt_i32_e32 vcc_lo, 5, v17
	v_cmp_eq_u32_e64 s0, 3, v17
	v_sub_nc_u32_e32 v15, 0x3f1, v22
	v_lshl_or_b32 v0, v14, 16, v0
	v_lshrrev_b32_e32 v14, 2, v19
	v_and_or_b32 v4, 0xffe, v20, v4
	s_or_b32 vcc_lo, s0, vcc_lo
	v_med3_i32 v15, v15, 0, 13
	v_and_or_b32 v6, 0x1ff, v7, v6
	s_wait_alu 0xfffe
	v_add_co_ci_u32_e32 v14, vcc_lo, 0, v14, vcc_lo
	v_or_b32_e32 v17, 0x1000, v4
	v_cmp_ne_u32_e32 vcc_lo, 0, v8
	v_lshrrev_b32_e32 v20, 8, v7
	v_bfe_u32 v23, v7, 20, 11
	v_lshrrev_b32_e32 v7, 16, v7
	v_lshrrev_b32_e32 v19, v15, v17
	s_wait_alu 0xfffd
	v_cndmask_b32_e64 v8, 0, 1, vcc_lo
	v_cmp_gt_i32_e32 vcc_lo, 31, v21
	s_delay_alu instid0(VALU_DEP_3) | instskip(NEXT) | instid1(VALU_DEP_3)
	v_lshlrev_b32_e32 v15, v15, v19
	v_lshl_or_b32 v8, v8, 9, 0x7c00
	s_wait_alu 0xfffd
	v_cndmask_b32_e32 v14, 0x7c00, v14, vcc_lo
	v_cmp_ne_u32_e32 vcc_lo, 0, v6
	v_and_or_b32 v10, 0x1ff, v11, v10
	s_wait_alu 0xfffd
	v_cndmask_b32_e64 v6, 0, 1, vcc_lo
	v_cmp_ne_u32_e32 vcc_lo, v15, v17
	v_add_nc_u32_e32 v17, 0xfffffc10, v22
	v_bfe_u32 v22, v11, 20, 11
	s_delay_alu instid0(VALU_DEP_4)
	v_and_or_b32 v6, 0xffe, v20, v6
	s_wait_alu 0xfffd
	v_cndmask_b32_e64 v15, 0, 1, vcc_lo
	v_sub_nc_u32_e32 v20, 0x3f1, v23
	v_cmp_eq_u32_e32 vcc_lo, 0x40f, v21
	v_lshrrev_b32_e32 v21, 8, v11
	s_delay_alu instid0(VALU_DEP_3)
	v_med3_i32 v20, v20, 0, 13
	s_wait_alu 0xfffd
	v_cndmask_b32_e32 v8, v14, v8, vcc_lo
	v_or_b32_e32 v14, v19, v15
	v_lshl_or_b32 v15, v17, 12, v4
	v_or_b32_e32 v19, 0x1000, v6
	v_cmp_gt_i32_e32 vcc_lo, 1, v17
	v_and_or_b32 v8, 0x8000, v9, v8
	s_wait_alu 0xfffd
	v_cndmask_b32_e32 v14, v15, v14, vcc_lo
	v_lshrrev_b32_e32 v15, v20, v19
	v_cmp_ne_u32_e32 vcc_lo, 0, v10
	v_and_b32_e32 v8, 0xffff, v8
	s_delay_alu instid0(VALU_DEP_4) | instskip(NEXT) | instid1(VALU_DEP_4)
	v_and_b32_e32 v24, 7, v14
	v_lshlrev_b32_e32 v20, v20, v15
	s_wait_alu 0xfffd
	v_cndmask_b32_e64 v10, 0, 1, vcc_lo
	v_lshrrev_b32_e32 v14, 2, v14
	v_cmp_lt_i32_e32 vcc_lo, 5, v24
	v_cmp_ne_u32_e64 s0, v20, v19
	s_delay_alu instid0(VALU_DEP_4)
	v_and_or_b32 v9, 0xffe, v21, v10
	v_sub_nc_u32_e32 v10, 0x3f1, v22
	v_add_nc_u32_e32 v21, 0xfffffc10, v23
	s_wait_alu 0xf1ff
	v_cndmask_b32_e64 v19, 0, 1, s0
	v_cmp_eq_u32_e64 s0, 3, v24
	v_or_b32_e32 v20, 0x1000, v9
	v_med3_i32 v10, v10, 0, 13
	v_lshl_or_b32 v23, v21, 12, v6
	v_or_b32_e32 v15, v15, v19
	s_or_b32 vcc_lo, s0, vcc_lo
	s_wait_alu 0xfffe
	v_add_co_ci_u32_e32 v14, vcc_lo, 0, v14, vcc_lo
	v_lshrrev_b32_e32 v19, v10, v20
	v_cmp_gt_i32_e32 vcc_lo, 1, v21
	s_delay_alu instid0(VALU_DEP_2)
	v_lshlrev_b32_e32 v10, v10, v19
	s_wait_alu 0xfffd
	v_cndmask_b32_e32 v15, v23, v15, vcc_lo
	v_cmp_ne_u32_e32 vcc_lo, 0, v4
	s_wait_alu 0xfffd
	v_cndmask_b32_e64 v4, 0, 1, vcc_lo
	v_cmp_ne_u32_e32 vcc_lo, v10, v20
	v_add_nc_u32_e32 v20, 0xfffffc10, v22
	v_and_b32_e32 v22, 7, v15
	s_delay_alu instid0(VALU_DEP_4)
	v_lshl_or_b32 v4, v4, 9, 0x7c00
	s_wait_alu 0xfffd
	v_cndmask_b32_e64 v10, 0, 1, vcc_lo
	v_cmp_gt_i32_e32 vcc_lo, 31, v17
	v_cmp_gt_i32_e64 s1, 1, v20
	v_cmp_eq_u32_e64 s0, 3, v22
	s_delay_alu instid0(VALU_DEP_4)
	v_or_b32_e32 v10, v19, v10
	v_lshl_or_b32 v19, v20, 12, v9
	s_wait_alu 0xfffd
	v_cndmask_b32_e32 v14, 0x7c00, v14, vcc_lo
	v_cmp_lt_i32_e32 vcc_lo, 5, v22
	s_wait_alu 0xf1ff
	v_cndmask_b32_e64 v10, v19, v10, s1
	v_cmp_eq_u32_e64 s1, 0x40f, v17
	s_or_b32 vcc_lo, s0, vcc_lo
	s_delay_alu instid0(VALU_DEP_1)
	v_cndmask_b32_e64 v4, v14, v4, s1
	v_lshrrev_b32_e32 v14, 2, v15
	v_and_b32_e32 v15, 7, v10
	v_lshrrev_b32_e32 v10, 2, v10
	v_cmp_gt_i32_e64 s1, 31, v21
	s_wait_alu 0xfffe
	v_add_co_ci_u32_e32 v14, vcc_lo, 0, v14, vcc_lo
	v_cmp_ne_u32_e32 vcc_lo, 0, v6
	v_cmp_eq_u32_e64 s0, 3, v15
	s_wait_alu 0xf1ff
	s_delay_alu instid0(VALU_DEP_3) | instskip(SKIP_3) | instid1(VALU_DEP_2)
	v_cndmask_b32_e64 v14, 0x7c00, v14, s1
	s_wait_alu 0xfffd
	v_cndmask_b32_e64 v6, 0, 1, vcc_lo
	v_cmp_lt_i32_e32 vcc_lo, 5, v15
	v_lshl_or_b32 v6, v6, 9, 0x7c00
	s_or_b32 vcc_lo, s0, vcc_lo
	s_wait_alu 0xfffe
	v_add_co_ci_u32_e32 v10, vcc_lo, 0, v10, vcc_lo
	v_cmp_ne_u32_e32 vcc_lo, 0, v9
	s_wait_alu 0xfffd
	v_cndmask_b32_e64 v9, 0, 1, vcc_lo
	v_cmp_eq_u32_e32 vcc_lo, 0x40f, v21
	s_delay_alu instid0(VALU_DEP_2) | instskip(SKIP_4) | instid1(VALU_DEP_3)
	v_lshl_or_b32 v9, v9, 9, 0x7c00
	s_wait_alu 0xfffd
	v_cndmask_b32_e32 v6, v14, v6, vcc_lo
	v_cmp_gt_i32_e32 vcc_lo, 31, v20
	v_and_or_b32 v14, 0x8000, v5, v4
	v_and_or_b32 v6, 0x8000, v7, v6
	s_wait_alu 0xfffd
	v_cndmask_b32_e32 v10, 0x7c00, v10, vcc_lo
	v_cmp_eq_u32_e32 vcc_lo, 0x40f, v20
	s_wait_alu 0xfffd
	s_delay_alu instid0(VALU_DEP_2)
	v_cndmask_b32_e32 v7, v10, v9, vcc_lo
	v_lshrrev_b32_e32 v9, 16, v11
	v_add_co_u32 v4, vcc_lo, v12, s22
	s_wait_alu 0xfffd
	v_add_co_ci_u32_e32 v5, vcc_lo, s23, v13, vcc_lo
	v_lshl_or_b32 v10, v14, 16, v8
	v_and_or_b32 v8, 0x8000, v9, v7
	v_and_b32_e32 v9, 0xffff, v6
	v_add_co_u32 v6, vcc_lo, v4, s22
	s_wait_alu 0xfffd
	v_add_co_ci_u32_e32 v7, vcc_lo, s23, v5, vcc_lo
	s_delay_alu instid0(VALU_DEP_3) | instskip(NEXT) | instid1(VALU_DEP_3)
	v_lshl_or_b32 v11, v8, 16, v9
	v_add_co_u32 v8, vcc_lo, v6, s22
	s_wait_alu 0xfffd
	s_delay_alu instid0(VALU_DEP_3)
	v_add_co_ci_u32_e32 v9, vcc_lo, s23, v7, vcc_lo
	global_store_b32 v[2:3], v16, off
	global_store_b32 v[12:13], v18, off
	;; [unrolled: 1-line block ×5, first 2 shown]
	global_load_b32 v0, v34, s[20:21] offset:6912
	v_lshrrev_b32_e32 v2, 16, v1
	s_wait_loadcnt 0x0
	v_lshrrev_b32_e32 v3, 16, v0
	s_delay_alu instid0(VALU_DEP_1) | instskip(SKIP_1) | instid1(VALU_DEP_2)
	v_mul_f16_e32 v4, v2, v3
	v_mul_f16_e32 v3, v1, v3
	v_fmac_f16_e32 v4, v1, v0
	s_delay_alu instid0(VALU_DEP_2) | instskip(NEXT) | instid1(VALU_DEP_2)
	v_fma_f16 v0, v0, v2, -v3
	v_cvt_f32_f16_e32 v1, v4
	s_delay_alu instid0(VALU_DEP_2) | instskip(NEXT) | instid1(VALU_DEP_2)
	v_cvt_f32_f16_e32 v2, v0
	v_cvt_f64_f32_e32 v[0:1], v1
	s_delay_alu instid0(VALU_DEP_2) | instskip(NEXT) | instid1(VALU_DEP_2)
	v_cvt_f64_f32_e32 v[2:3], v2
	v_mul_f64_e32 v[0:1], s[24:25], v[0:1]
	s_delay_alu instid0(VALU_DEP_2) | instskip(NEXT) | instid1(VALU_DEP_2)
	v_mul_f64_e32 v[2:3], s[24:25], v[2:3]
	v_and_or_b32 v0, 0x1ff, v1, v0
	s_delay_alu instid0(VALU_DEP_2)
	v_and_or_b32 v2, 0x1ff, v3, v2
	v_lshrrev_b32_e32 v4, 8, v1
	v_bfe_u32 v5, v1, 20, 11
	v_lshrrev_b32_e32 v6, 8, v3
	v_cmp_ne_u32_e32 vcc_lo, 0, v0
	v_bfe_u32 v7, v3, 20, 11
	v_lshrrev_b32_e32 v1, 16, v1
	v_lshrrev_b32_e32 v3, 16, v3
	s_wait_alu 0xfffd
	v_cndmask_b32_e64 v0, 0, 1, vcc_lo
	v_cmp_ne_u32_e32 vcc_lo, 0, v2
	s_delay_alu instid0(VALU_DEP_2)
	v_and_or_b32 v0, 0xffe, v4, v0
	s_wait_alu 0xfffd
	v_cndmask_b32_e64 v2, 0, 1, vcc_lo
	v_sub_nc_u32_e32 v4, 0x3f1, v5
	v_add_nc_u32_e32 v5, 0xfffffc10, v5
	v_or_b32_e32 v10, 0x1000, v0
	s_delay_alu instid0(VALU_DEP_4) | instskip(SKIP_3) | instid1(VALU_DEP_4)
	v_and_or_b32 v2, 0xffe, v6, v2
	v_sub_nc_u32_e32 v6, 0x3f1, v7
	v_med3_i32 v4, v4, 0, 13
	v_add_nc_u32_e32 v7, 0xfffffc10, v7
	v_or_b32_e32 v11, 0x1000, v2
	s_delay_alu instid0(VALU_DEP_4) | instskip(NEXT) | instid1(VALU_DEP_4)
	v_med3_i32 v6, v6, 0, 13
	v_lshrrev_b32_e32 v12, v4, v10
	s_delay_alu instid0(VALU_DEP_2) | instskip(NEXT) | instid1(VALU_DEP_2)
	v_lshrrev_b32_e32 v13, v6, v11
	v_lshlrev_b32_e32 v4, v4, v12
	s_delay_alu instid0(VALU_DEP_2) | instskip(NEXT) | instid1(VALU_DEP_2)
	v_lshlrev_b32_e32 v6, v6, v13
	v_cmp_ne_u32_e32 vcc_lo, v4, v10
	v_lshl_or_b32 v10, v5, 12, v0
	s_wait_alu 0xfffd
	v_cndmask_b32_e64 v4, 0, 1, vcc_lo
	v_cmp_ne_u32_e32 vcc_lo, v6, v11
	v_lshl_or_b32 v11, v7, 12, v2
	s_delay_alu instid0(VALU_DEP_3) | instskip(SKIP_3) | instid1(VALU_DEP_2)
	v_or_b32_e32 v4, v12, v4
	s_wait_alu 0xfffd
	v_cndmask_b32_e64 v6, 0, 1, vcc_lo
	v_cmp_gt_i32_e32 vcc_lo, 1, v5
	v_or_b32_e32 v6, v13, v6
	s_wait_alu 0xfffd
	v_cndmask_b32_e32 v4, v10, v4, vcc_lo
	v_cmp_gt_i32_e32 vcc_lo, 1, v7
	s_delay_alu instid0(VALU_DEP_2) | instskip(SKIP_3) | instid1(VALU_DEP_3)
	v_and_b32_e32 v10, 7, v4
	s_wait_alu 0xfffd
	v_cndmask_b32_e32 v6, v11, v6, vcc_lo
	v_lshrrev_b32_e32 v4, 2, v4
	v_cmp_lt_i32_e32 vcc_lo, 5, v10
	v_cmp_eq_u32_e64 s0, 3, v10
	s_delay_alu instid0(VALU_DEP_4) | instskip(SKIP_1) | instid1(VALU_DEP_3)
	v_and_b32_e32 v11, 7, v6
	v_lshrrev_b32_e32 v6, 2, v6
	s_or_b32 vcc_lo, s0, vcc_lo
	s_delay_alu instid0(VALU_DEP_2)
	v_cmp_lt_i32_e64 s1, 5, v11
	s_wait_alu 0xfffe
	v_add_co_ci_u32_e32 v4, vcc_lo, 0, v4, vcc_lo
	v_cmp_eq_u32_e64 s2, 3, v11
	v_cmp_ne_u32_e32 vcc_lo, 0, v0
	s_wait_alu 0xfffd
	v_cndmask_b32_e64 v0, 0, 1, vcc_lo
	s_delay_alu instid0(VALU_DEP_3)
	s_or_b32 vcc_lo, s2, s1
	s_wait_alu 0xfffe
	v_add_co_ci_u32_e32 v6, vcc_lo, 0, v6, vcc_lo
	v_cmp_ne_u32_e32 vcc_lo, 0, v2
	v_lshl_or_b32 v0, v0, 9, 0x7c00
	s_wait_alu 0xfffd
	v_cndmask_b32_e64 v2, 0, 1, vcc_lo
	v_cmp_gt_i32_e32 vcc_lo, 31, v5
	s_delay_alu instid0(VALU_DEP_2)
	v_lshl_or_b32 v2, v2, 9, 0x7c00
	s_wait_alu 0xfffd
	v_cndmask_b32_e32 v4, 0x7c00, v4, vcc_lo
	v_cmp_gt_i32_e32 vcc_lo, 31, v7
	s_wait_alu 0xfffd
	v_cndmask_b32_e32 v6, 0x7c00, v6, vcc_lo
	v_cmp_eq_u32_e32 vcc_lo, 0x40f, v5
	s_wait_alu 0xfffd
	v_cndmask_b32_e32 v0, v4, v0, vcc_lo
	v_cmp_eq_u32_e32 vcc_lo, 0x40f, v7
	s_delay_alu instid0(VALU_DEP_2) | instskip(SKIP_2) | instid1(VALU_DEP_2)
	v_and_or_b32 v0, 0x8000, v1, v0
	s_wait_alu 0xfffd
	v_cndmask_b32_e32 v2, v6, v2, vcc_lo
	v_and_b32_e32 v0, 0xffff, v0
	s_delay_alu instid0(VALU_DEP_2) | instskip(NEXT) | instid1(VALU_DEP_1)
	v_and_or_b32 v1, 0x8000, v3, v2
	v_lshl_or_b32 v2, v1, 16, v0
	v_add_co_u32 v0, vcc_lo, v8, s22
	s_wait_alu 0xfffd
	v_add_co_ci_u32_e32 v1, vcc_lo, s23, v9, vcc_lo
	global_store_b32 v[0:1], v2, off
.LBB0_15:
	s_nop 0
	s_sendmsg sendmsg(MSG_DEALLOC_VGPRS)
	s_endpgm
	.section	.rodata,"a",@progbits
	.p2align	6, 0x0
	.amdhsa_kernel bluestein_single_fwd_len1872_dim1_half_op_CI_CI
		.amdhsa_group_segment_fixed_size 7488
		.amdhsa_private_segment_fixed_size 0
		.amdhsa_kernarg_size 104
		.amdhsa_user_sgpr_count 2
		.amdhsa_user_sgpr_dispatch_ptr 0
		.amdhsa_user_sgpr_queue_ptr 0
		.amdhsa_user_sgpr_kernarg_segment_ptr 1
		.amdhsa_user_sgpr_dispatch_id 0
		.amdhsa_user_sgpr_private_segment_size 0
		.amdhsa_wavefront_size32 1
		.amdhsa_uses_dynamic_stack 0
		.amdhsa_enable_private_segment 0
		.amdhsa_system_sgpr_workgroup_id_x 1
		.amdhsa_system_sgpr_workgroup_id_y 0
		.amdhsa_system_sgpr_workgroup_id_z 0
		.amdhsa_system_sgpr_workgroup_info 0
		.amdhsa_system_vgpr_workitem_id 0
		.amdhsa_next_free_vgpr 190
		.amdhsa_next_free_sgpr 26
		.amdhsa_reserve_vcc 1
		.amdhsa_float_round_mode_32 0
		.amdhsa_float_round_mode_16_64 0
		.amdhsa_float_denorm_mode_32 3
		.amdhsa_float_denorm_mode_16_64 3
		.amdhsa_fp16_overflow 0
		.amdhsa_workgroup_processor_mode 1
		.amdhsa_memory_ordered 1
		.amdhsa_forward_progress 0
		.amdhsa_round_robin_scheduling 0
		.amdhsa_exception_fp_ieee_invalid_op 0
		.amdhsa_exception_fp_denorm_src 0
		.amdhsa_exception_fp_ieee_div_zero 0
		.amdhsa_exception_fp_ieee_overflow 0
		.amdhsa_exception_fp_ieee_underflow 0
		.amdhsa_exception_fp_ieee_inexact 0
		.amdhsa_exception_int_div_zero 0
	.end_amdhsa_kernel
	.text
.Lfunc_end0:
	.size	bluestein_single_fwd_len1872_dim1_half_op_CI_CI, .Lfunc_end0-bluestein_single_fwd_len1872_dim1_half_op_CI_CI
                                        ; -- End function
	.section	.AMDGPU.csdata,"",@progbits
; Kernel info:
; codeLenInByte = 25636
; NumSgprs: 28
; NumVgprs: 190
; ScratchSize: 0
; MemoryBound: 0
; FloatMode: 240
; IeeeMode: 1
; LDSByteSize: 7488 bytes/workgroup (compile time only)
; SGPRBlocks: 3
; VGPRBlocks: 23
; NumSGPRsForWavesPerEU: 28
; NumVGPRsForWavesPerEU: 190
; Occupancy: 8
; WaveLimiterHint : 1
; COMPUTE_PGM_RSRC2:SCRATCH_EN: 0
; COMPUTE_PGM_RSRC2:USER_SGPR: 2
; COMPUTE_PGM_RSRC2:TRAP_HANDLER: 0
; COMPUTE_PGM_RSRC2:TGID_X_EN: 1
; COMPUTE_PGM_RSRC2:TGID_Y_EN: 0
; COMPUTE_PGM_RSRC2:TGID_Z_EN: 0
; COMPUTE_PGM_RSRC2:TIDIG_COMP_CNT: 0
	.text
	.p2alignl 7, 3214868480
	.fill 96, 4, 3214868480
	.type	__hip_cuid_656f930369a1884d,@object ; @__hip_cuid_656f930369a1884d
	.section	.bss,"aw",@nobits
	.globl	__hip_cuid_656f930369a1884d
__hip_cuid_656f930369a1884d:
	.byte	0                               ; 0x0
	.size	__hip_cuid_656f930369a1884d, 1

	.ident	"AMD clang version 19.0.0git (https://github.com/RadeonOpenCompute/llvm-project roc-6.4.0 25133 c7fe45cf4b819c5991fe208aaa96edf142730f1d)"
	.section	".note.GNU-stack","",@progbits
	.addrsig
	.addrsig_sym __hip_cuid_656f930369a1884d
	.amdgpu_metadata
---
amdhsa.kernels:
  - .args:
      - .actual_access:  read_only
        .address_space:  global
        .offset:         0
        .size:           8
        .value_kind:     global_buffer
      - .actual_access:  read_only
        .address_space:  global
        .offset:         8
        .size:           8
        .value_kind:     global_buffer
      - .actual_access:  read_only
        .address_space:  global
        .offset:         16
        .size:           8
        .value_kind:     global_buffer
      - .actual_access:  read_only
        .address_space:  global
        .offset:         24
        .size:           8
        .value_kind:     global_buffer
      - .actual_access:  read_only
        .address_space:  global
        .offset:         32
        .size:           8
        .value_kind:     global_buffer
      - .offset:         40
        .size:           8
        .value_kind:     by_value
      - .address_space:  global
        .offset:         48
        .size:           8
        .value_kind:     global_buffer
      - .address_space:  global
        .offset:         56
        .size:           8
        .value_kind:     global_buffer
      - .address_space:  global
        .offset:         64
        .size:           8
        .value_kind:     global_buffer
      - .address_space:  global
        .offset:         72
        .size:           8
        .value_kind:     global_buffer
      - .offset:         80
        .size:           4
        .value_kind:     by_value
      - .address_space:  global
        .offset:         88
        .size:           8
        .value_kind:     global_buffer
      - .address_space:  global
        .offset:         96
        .size:           8
        .value_kind:     global_buffer
    .group_segment_fixed_size: 7488
    .kernarg_segment_align: 8
    .kernarg_segment_size: 104
    .language:       OpenCL C
    .language_version:
      - 2
      - 0
    .max_flat_workgroup_size: 156
    .name:           bluestein_single_fwd_len1872_dim1_half_op_CI_CI
    .private_segment_fixed_size: 0
    .sgpr_count:     28
    .sgpr_spill_count: 0
    .symbol:         bluestein_single_fwd_len1872_dim1_half_op_CI_CI.kd
    .uniform_work_group_size: 1
    .uses_dynamic_stack: false
    .vgpr_count:     190
    .vgpr_spill_count: 0
    .wavefront_size: 32
    .workgroup_processor_mode: 1
amdhsa.target:   amdgcn-amd-amdhsa--gfx1201
amdhsa.version:
  - 1
  - 2
...

	.end_amdgpu_metadata
